;; amdgpu-corpus repo=ROCm/Tensile kind=harvested arch=n/a opt=n/a

/******************************************/
/* Function Prefix                        */
/******************************************/



/******************************************/
/* Begin Kernel                           */
/******************************************/

// Component.Signature.SignatureDefault
.amdgcn_target "amdgcn-amd-amdhsa--gfx942"
.text
.protected Cijk_Ailk_Bljk_DB_MT1024x16x8_MI16x16x4x1_SN_1LDSB0_APM1_AF0EM2_AF1EM1_AMAS3_ASE_ASGT_ASLT117_ASM_ASAE01_ASCE01_ASEM1_BL1_BS0_CLR0_DTVA1_DTVB0_ETSP_EPS1_ELFLR0_EMLL0_FSSC10_FL2_GLVWA2_GLVWB1_GRCGA1_GRPM1_GRVW2_GSU1_GSUASB_GLS0_IU1_K1_LBSPPA0_LBSPPB128_LPA0_LPB2_LRVW1_LWPMn1_MIAV0_MKFGSU256_NTA0_NTB0_NTC3_NTD3_NEPBS4_NLCA8_NLCB1_ONLL1_PGR2_PLR3_PKA0_SIA3_SLW1_SS1_SU0_SUM0_SUS0_SPO1_SRVW0_SSO6_SVW2_TSGRA0_TSGRB0_TT16_16_TLDS1_UMLDSA0_UMLDSB1_USFGROn1_VAW1_VSn1_VW2_VWB1_VFLRP0_WSGRA0_WSGRB0_WG64_4_1_WGM1
.globl Cijk_Ailk_Bljk_DB_MT1024x16x8_MI16x16x4x1_SN_1LDSB0_APM1_AF0EM2_AF1EM1_AMAS3_ASE_ASGT_ASLT117_ASM_ASAE01_ASCE01_ASEM1_BL1_BS0_CLR0_DTVA1_DTVB0_ETSP_EPS1_ELFLR0_EMLL0_FSSC10_FL2_GLVWA2_GLVWB1_GRCGA1_GRPM1_GRVW2_GSU1_GSUASB_GLS0_IU1_K1_LBSPPA0_LBSPPB128_LPA0_LPB2_LRVW1_LWPMn1_MIAV0_MKFGSU256_NTA0_NTB0_NTC3_NTD3_NEPBS4_NLCA8_NLCB1_ONLL1_PGR2_PLR3_PKA0_SIA3_SLW1_SS1_SU0_SUM0_SUS0_SPO1_SRVW0_SSO6_SVW2_TSGRA0_TSGRB0_TT16_16_TLDS1_UMLDSA0_UMLDSB1_USFGROn1_VAW1_VSn1_VW2_VWB1_VFLRP0_WSGRA0_WSGRB0_WG64_4_1_WGM1
.p2align 8
.type Cijk_Ailk_Bljk_DB_MT1024x16x8_MI16x16x4x1_SN_1LDSB0_APM1_AF0EM2_AF1EM1_AMAS3_ASE_ASGT_ASLT117_ASM_ASAE01_ASCE01_ASEM1_BL1_BS0_CLR0_DTVA1_DTVB0_ETSP_EPS1_ELFLR0_EMLL0_FSSC10_FL2_GLVWA2_GLVWB1_GRCGA1_GRPM1_GRVW2_GSU1_GSUASB_GLS0_IU1_K1_LBSPPA0_LBSPPB128_LPA0_LPB2_LRVW1_LWPMn1_MIAV0_MKFGSU256_NTA0_NTB0_NTC3_NTD3_NEPBS4_NLCA8_NLCB1_ONLL1_PGR2_PLR3_PKA0_SIA3_SLW1_SS1_SU0_SUM0_SUS0_SPO1_SRVW0_SSO6_SVW2_TSGRA0_TSGRB0_TT16_16_TLDS1_UMLDSA0_UMLDSB1_USFGROn1_VAW1_VSn1_VW2_VWB1_VFLRP0_WSGRA0_WSGRB0_WG64_4_1_WGM1,@function
.section .rodata,#alloc
.p2align 6
.amdhsa_kernel Cijk_Ailk_Bljk_DB_MT1024x16x8_MI16x16x4x1_SN_1LDSB0_APM1_AF0EM2_AF1EM1_AMAS3_ASE_ASGT_ASLT117_ASM_ASAE01_ASCE01_ASEM1_BL1_BS0_CLR0_DTVA1_DTVB0_ETSP_EPS1_ELFLR0_EMLL0_FSSC10_FL2_GLVWA2_GLVWB1_GRCGA1_GRPM1_GRVW2_GSU1_GSUASB_GLS0_IU1_K1_LBSPPA0_LBSPPB128_LPA0_LPB2_LRVW1_LWPMn1_MIAV0_MKFGSU256_NTA0_NTB0_NTC3_NTD3_NEPBS4_NLCA8_NLCB1_ONLL1_PGR2_PLR3_PKA0_SIA3_SLW1_SS1_SU0_SUM0_SUS0_SPO1_SRVW0_SSO6_SVW2_TSGRA0_TSGRB0_TT16_16_TLDS1_UMLDSA0_UMLDSB1_USFGROn1_VAW1_VSn1_VW2_VWB1_VFLRP0_WSGRA0_WSGRB0_WG64_4_1_WGM1
  .amdhsa_user_sgpr_kernarg_segment_ptr 1
  .amdhsa_user_sgpr_kernarg_preload_offset 0
  .amdhsa_user_sgpr_kernarg_preload_length 0
  .amdhsa_user_sgpr_count 2
  .amdhsa_accum_offset 256 // accvgpr offset
  .amdhsa_next_free_vgpr 384 // vgprs
  .amdhsa_next_free_sgpr 58 // sgprs
  .amdhsa_group_segment_fixed_size 3200 // lds bytes
  .amdhsa_private_segment_fixed_size 0
  .amdhsa_system_sgpr_workgroup_id_x 1
  .amdhsa_system_sgpr_workgroup_id_y 1
  .amdhsa_system_sgpr_workgroup_id_z 1
  .amdhsa_system_vgpr_workitem_id 0
  .amdhsa_float_denorm_mode_32 3
  .amdhsa_float_denorm_mode_16_64 3
.end_amdhsa_kernel
.text

/******************************************/
/* Optimizations and Config:              */
/******************************************/
/* ThreadTile= 64 x 1 */
/* SubGroup= 16 x 16 */
/* VectorWidthA=2 */
/* VectorWidthB=1 */
/* GlobalLoadVectorWidthA=2, GlobalLoadVectorWidthB=1 */
/* DirectToLdsA=False */
/* DirectToLdsB=False */
/* UseSgprForGRO=0 */
.amdgpu_metadata
---
amdhsa.version:
  - 1
  - 1
amdhsa.target: amdgcn-amd-amdhsa--gfx942
amdhsa.kernels:
  - .name: Cijk_Ailk_Bljk_DB_MT1024x16x8_MI16x16x4x1_SN_1LDSB0_APM1_AF0EM2_AF1EM1_AMAS3_ASE_ASGT_ASLT117_ASM_ASAE01_ASCE01_ASEM1_BL1_BS0_CLR0_DTVA1_DTVB0_ETSP_EPS1_ELFLR0_EMLL0_FSSC10_FL2_GLVWA2_GLVWB1_GRCGA1_GRPM1_GRVW2_GSU1_GSUASB_GLS0_IU1_K1_LBSPPA0_LBSPPB128_LPA0_LPB2_LRVW1_LWPMn1_MIAV0_MKFGSU256_NTA0_NTB0_NTC3_NTD3_NEPBS4_NLCA8_NLCB1_ONLL1_PGR2_PLR3_PKA0_SIA3_SLW1_SS1_SU0_SUM0_SUS0_SPO1_SRVW0_SSO6_SVW2_TSGRA0_TSGRB0_TT16_16_TLDS1_UMLDSA0_UMLDSB1_USFGROn1_VAW1_VSn1_VW2_VWB1_VFLRP0_WSGRA0_WSGRB0_WG64_4_1_WGM1
    .symbol: 'Cijk_Ailk_Bljk_DB_MT1024x16x8_MI16x16x4x1_SN_1LDSB0_APM1_AF0EM2_AF1EM1_AMAS3_ASE_ASGT_ASLT117_ASM_ASAE01_ASCE01_ASEM1_BL1_BS0_CLR0_DTVA1_DTVB0_ETSP_EPS1_ELFLR0_EMLL0_FSSC10_FL2_GLVWA2_GLVWB1_GRCGA1_GRPM1_GRVW2_GSU1_GSUASB_GLS0_IU1_K1_LBSPPA0_LBSPPB128_LPA0_LPB2_LRVW1_LWPMn1_MIAV0_MKFGSU256_NTA0_NTB0_NTC3_NTD3_NEPBS4_NLCA8_NLCB1_ONLL1_PGR2_PLR3_PKA0_SIA3_SLW1_SS1_SU0_SUM0_SUS0_SPO1_SRVW0_SSO6_SVW2_TSGRA0_TSGRB0_TT16_16_TLDS1_UMLDSA0_UMLDSB1_USFGROn1_VAW1_VSn1_VW2_VWB1_VFLRP0_WSGRA0_WSGRB0_WG64_4_1_WGM1.kd'
    .language:                   OpenCL C
    .language_version:
      - 2
      - 0
    .args:
      - .name:            Tensor2dSizeA
        .size:            8
        .offset:          0
        .value_kind:      by_value
        .value_type:      u64
      - .name:            Tensor2dSizeB
        .size:            8
        .offset:          8
        .value_kind:      by_value
        .value_type:      u64
      - .name:            AddressD
        .size:            8
        .offset:          16
        .value_kind:      by_value
        .value_type:      u64
      - .name:            AddressC
        .size:            8
        .offset:          24
        .value_kind:      by_value
        .value_type:      u64
      - .name:            AddressA
        .size:            8
        .offset:          32
        .value_kind:      by_value
        .value_type:      u64
      - .name:            AddressB
        .size:            8
        .offset:          40
        .value_kind:      by_value
        .value_type:      u64
      - .name:            Alpha
        .size:            8
        .offset:          48
        .value_kind:      by_value
        .value_type:      u64
      - .name:            Beta
        .size:            8
        .offset:          56
        .value_kind:      by_value
        .value_type:      u64
      - .name:            StridesD
        .size:            8
        .offset:          64
        .value_kind:      by_value
        .value_type:      u64
      - .name:            StridesC
        .size:            8
        .offset:          72
        .value_kind:      by_value
        .value_type:      u64
      - .name:            StridesA
        .size:            8
        .offset:          80
        .value_kind:      by_value
        .value_type:      u64
      - .name:            StridesB
        .size:            8
        .offset:          88
        .value_kind:      by_value
        .value_type:      u64
      - .name:            SizesFree
        .size:            12
        .offset:          96
        .value_kind:      by_value
        .value_type:      u96
      - .name:            SizesSum
        .size:            4
        .offset:          108
        .value_kind:      by_value
        .value_type:      u32
      - .name:            NumWorkGroups0
        .size:            4
        .offset:          112
        .value_kind:      by_value
        .value_type:      u32
      - .name:            NumWorkGroups1
        .size:            4
        .offset:          116
        .value_kind:      by_value
        .value_type:      u32
    .group_segment_fixed_size:   3200
    .kernarg_segment_align:      8
    .kernarg_segment_size:       120
    .max_flat_workgroup_size:    256
    .private_segment_fixed_size: 0
    .sgpr_count:                 58
    .sgpr_spill_count:           0
    .vgpr_count:                 256
    .vgpr_spill_count:           0
    .wavefront_size:             64
...
.end_amdgpu_metadata
Cijk_Ailk_Bljk_DB_MT1024x16x8_MI16x16x4x1_SN_1LDSB0_APM1_AF0EM2_AF1EM1_AMAS3_ASE_ASGT_ASLT117_ASM_ASAE01_ASCE01_ASEM1_BL1_BS0_CLR0_DTVA1_DTVB0_ETSP_EPS1_ELFLR0_EMLL0_FSSC10_FL2_GLVWA2_GLVWB1_GRCGA1_GRPM1_GRVW2_GSU1_GSUASB_GLS0_IU1_K1_LBSPPA0_LBSPPB128_LPA0_LPB2_LRVW1_LWPMn1_MIAV0_MKFGSU256_NTA0_NTB0_NTC3_NTD3_NEPBS4_NLCA8_NLCB1_ONLL1_PGR2_PLR3_PKA0_SIA3_SLW1_SS1_SU0_SUM0_SUS0_SPO1_SRVW0_SSO6_SVW2_TSGRA0_TSGRB0_TT16_16_TLDS1_UMLDSA0_UMLDSB1_USFGROn1_VAW1_VSn1_VW2_VWB1_VFLRP0_WSGRA0_WSGRB0_WG64_4_1_WGM1:

/******************************************/
/* Asm syntax workarounds                 */
/******************************************/
.macro _v_add_co_u32 dst:req, cc:req, src0:req, src1:req, dpp=
   v_add_co_u32 \dst, \cc, \src0, \src1 \dpp
.endm

.macro _v_add_u32 dst:req, src0:req, src1:req, dpp=
   v_add_u32 \dst, \src0, \src1 \dpp
.endm

.macro _v_add_i32 dst:req, src0:req, src1:req, dpp=
   v_add_i32 \dst, \src0, \src1 \dpp
.endm

.macro _v_addc_co_u32 dst:req, ccOut:req, src0:req, ccIn:req, src1:req, dpp=
   v_addc_co_u32 \dst, \ccOut, \src0, \ccIn, \src1 \dpp
.endm

.macro _v_sub_co_u32 dst:req, cc:req, src0:req, src1:req, dpp=
   v_sub_co_u32 \dst, \cc, \src0, \src1 \dpp
.endm

.macro _v_sub_u32 dst:req, src0:req, src1:req, dpp=
   v_sub_u32 \dst, \src0, \src1 \dpp
.endm

.macro _v_sub_i32 dst:req, src0:req, src1:req, dpp=
   v_sub_i32 \dst, \src0, \src1 \dpp
.endm

.macro _v_add_lshl_u32 dst:req, src0:req, src1:req, shiftCnt:req
    v_add_lshl_u32 \dst, \src0, \src1, \shiftCnt
.endm

.macro _v_lshl_add_u32 dst:req, src0:req, src1:req, shiftCnt:req
    v_lshl_add_u32 \dst, \src0, \src1, \shiftCnt
.endm

.macro _v_lshl_or_b32 dst:req, src0:req, shiftCnt:req, src1:req
    v_lshl_or_b32 \dst, \src0, \shiftCnt, \src1
.endm

.macro _v_dot2acc_f32_f16 dst, src0, src1
v_dot2c_f32_f16 \dst, \src0, \src1
.endm

.macro _v_cmpx_lt_i16 dst, src0, src1=
   v_cmpx_lt_i16 \dst, \src0, \src1 
.endm

.macro _v_cmpx_lt_i32 dst, src0, src1=
   v_cmpx_lt_i32 \dst, \src0, \src1 
.endm

.macro _v_cmpx_lt_i64 dst, src0, src1=
   v_cmpx_lt_i64 \dst, \src0, \src1 
.endm

.macro _v_cmpx_lt_u16 dst, src0, src1=
   v_cmpx_lt_u16 \dst, \src0, \src1 
.endm

.macro _v_cmpx_lt_u32 dst, src0, src1=
   v_cmpx_lt_u32 \dst, \src0, \src1 
.endm

.macro _v_cmpx_lt_u64 dst, src0, src1=
   v_cmpx_lt_u64 \dst, \src0, \src1 
.endm

.macro _v_cmpx_eq_i16 dst, src0, src1=
   v_cmpx_eq_i16 \dst, \src0, \src1 
.endm

.macro _v_cmpx_eq_i32 dst, src0, src1=
   v_cmpx_eq_i32 \dst, \src0, \src1 
.endm

.macro _v_cmpx_eq_i64 dst, src0, src1=
   v_cmpx_eq_i64 \dst, \src0, \src1 
.endm

.macro _v_cmpx_eq_u16 dst, src0, src1=
   v_cmpx_eq_u16 \dst, \src0, \src1 
.endm

.macro _v_cmpx_eq_u32 dst, src0, src1=
   v_cmpx_eq_u32 \dst, \src0, \src1 
.endm

.macro _v_cmpx_eq_u64 dst, src0, src1=
   v_cmpx_eq_u64 \dst, \src0, \src1 
.endm

.macro _v_cmpx_le_i16 dst, src0, src1=
   v_cmpx_le_i16 \dst, \src0, \src1 
.endm

.macro _v_cmpx_le_i32 dst, src0, src1=
   v_cmpx_le_i32 \dst, \src0, \src1 
.endm

.macro _v_cmpx_le_i64 dst, src0, src1=
   v_cmpx_le_i64 \dst, \src0, \src1 
.endm

.macro _v_cmpx_le_u16 dst, src0, src1=
   v_cmpx_le_u16 \dst, \src0, \src1 
.endm

.macro _v_cmpx_le_u32 dst, src0, src1=
   v_cmpx_le_u32 \dst, \src0, \src1 
.endm

.macro _v_cmpx_le_u64 dst, src0, src1=
   v_cmpx_le_u64 \dst, \src0, \src1 
.endm

.macro _v_cmpx_gt_i16 dst, src0, src1=
   v_cmpx_gt_i16 \dst, \src0, \src1 
.endm

.macro _v_cmpx_gt_i32 dst, src0, src1=
   v_cmpx_gt_i32 \dst, \src0, \src1 
.endm

.macro _v_cmpx_gt_i64 dst, src0, src1=
   v_cmpx_gt_i64 \dst, \src0, \src1 
.endm

.macro _v_cmpx_gt_u16 dst, src0, src1=
   v_cmpx_gt_u16 \dst, \src0, \src1 
.endm

.macro _v_cmpx_gt_u32 dst, src0, src1=
   v_cmpx_gt_u32 \dst, \src0, \src1 
.endm

.macro _v_cmpx_gt_u64 dst, src0, src1=
   v_cmpx_gt_u64 \dst, \src0, \src1 
.endm

.macro _v_cmpx_ne_i16 dst, src0, src1=
   v_cmpx_ne_i16 \dst, \src0, \src1 
.endm

.macro _v_cmpx_ne_i32 dst, src0, src1=
   v_cmpx_ne_i32 \dst, \src0, \src1 
.endm

.macro _v_cmpx_ne_i64 dst, src0, src1=
   v_cmpx_ne_i64 \dst, \src0, \src1 
.endm

.macro _v_cmpx_ne_u16 dst, src0, src1=
   v_cmpx_ne_u16 \dst, \src0, \src1 
.endm

.macro _v_cmpx_ne_u32 dst, src0, src1=
   v_cmpx_ne_u32 \dst, \src0, \src1 
.endm

.macro _v_cmpx_ne_u64 dst, src0, src1=
   v_cmpx_ne_u64 \dst, \src0, \src1 
.endm

.macro _v_cmpx_lg_i16 dst, src0, src1=
   v_cmpx_lg_i16 \dst, \src0, \src1 
.endm

.macro _v_cmpx_lg_i32 dst, src0, src1=
   v_cmpx_lg_i32 \dst, \src0, \src1 
.endm

.macro _v_cmpx_lg_i64 dst, src0, src1=
   v_cmpx_lg_i64 \dst, \src0, \src1 
.endm

.macro _v_cmpx_lg_u16 dst, src0, src1=
   v_cmpx_lg_u16 \dst, \src0, \src1 
.endm

.macro _v_cmpx_lg_u32 dst, src0, src1=
   v_cmpx_lg_u32 \dst, \src0, \src1 
.endm

.macro _v_cmpx_lg_u64 dst, src0, src1=
   v_cmpx_lg_u64 \dst, \src0, \src1 
.endm

.macro _v_cmpx_ge_i16 dst, src0, src1=
   v_cmpx_ge_i16 \dst, \src0, \src1 
.endm

.macro _v_cmpx_ge_i32 dst, src0, src1=
   v_cmpx_ge_i32 \dst, \src0, \src1 
.endm

.macro _v_cmpx_ge_i64 dst, src0, src1=
   v_cmpx_ge_i64 \dst, \src0, \src1 
.endm

.macro _v_cmpx_ge_u16 dst, src0, src1=
   v_cmpx_ge_u16 \dst, \src0, \src1 
.endm

.macro _v_cmpx_ge_u32 dst, src0, src1=
   v_cmpx_ge_u32 \dst, \src0, \src1 
.endm

.macro _v_cmpx_ge_u64 dst, src0, src1=
   v_cmpx_ge_u64 \dst, \src0, \src1 
.endm

.macro _v_cmpx_o_i16 dst, src0, src1=
   v_cmpx_o_i16 \dst, \src0, \src1 
.endm

.macro _v_cmpx_o_i32 dst, src0, src1=
   v_cmpx_o_i32 \dst, \src0, \src1 
.endm

.macro _v_cmpx_o_i64 dst, src0, src1=
   v_cmpx_o_i64 \dst, \src0, \src1 
.endm

.macro _v_cmpx_o_u16 dst, src0, src1=
   v_cmpx_o_u16 \dst, \src0, \src1 
.endm

.macro _v_cmpx_o_u32 dst, src0, src1=
   v_cmpx_o_u32 \dst, \src0, \src1 
.endm

.macro _v_cmpx_o_u64 dst, src0, src1=
   v_cmpx_o_u64 \dst, \src0, \src1 
.endm

.macro _v_cmpx_u_i16 dst, src0, src1=
   v_cmpx_u_i16 \dst, \src0, \src1 
.endm

.macro _v_cmpx_u_i32 dst, src0, src1=
   v_cmpx_u_i32 \dst, \src0, \src1 
.endm

.macro _v_cmpx_u_i64 dst, src0, src1=
   v_cmpx_u_i64 \dst, \src0, \src1 
.endm

.macro _v_cmpx_u_u16 dst, src0, src1=
   v_cmpx_u_u16 \dst, \src0, \src1 
.endm

.macro _v_cmpx_u_u32 dst, src0, src1=
   v_cmpx_u_u32 \dst, \src0, \src1 
.endm

.macro _v_cmpx_u_u64 dst, src0, src1=
   v_cmpx_u_u64 \dst, \src0, \src1 
.endm
.macro _v_mac_f32 c:req, a:req, b:req
    v_fmac_f32 \c, \a, \b
.endmacro

/* scale global load macros */
.macro _s_load_b32 dst base offset
    s_load_dword \dst \base \offset
.endm

.macro _s_load_b64 dst base offset
    s_load_dwordx2 \dst \base \offset
.endm

.macro _s_load_b128 dst base offset
    s_load_dwordx4 \dst \base \offset
.endm

.macro _s_load_b256 dst base offset
    s_load_dwordx8 \dst \base \offset
.endm

.macro _s_load_b512 dst base offset
    s_load_dwordx16 \dst \base \offset
.endm


/* ds operation macros */
.macro _ds_load_u8 dst src offset
    ds_read_u8 \dst \src \offset
.endm

.macro _ds_load_u8_d16_hi dst src offset
    ds_read_u8_d16_hi \dst \src \offset
.endm

.macro _ds_load_u16 dst src offset
    ds_read_u16 \dst \src \offset
.endm

.macro _ds_load_u16_d16_hi dst src offset
    ds_read_u16_d16_hi \dst \src \offset
.endm

.macro _ds_load_b32 dst src offset
    ds_read_b32 \dst \src \offset
.endm

.macro _ds_load_b64 dst src offset
    ds_read_b64 \dst \src \offset
.endm

.macro _ds_load_b128 dst src offset
    ds_read_b128 \dst \src \offset
.endm

.macro _ds_store_b8 dst src offset
    ds_write_b8 \dst \src \offset
.endm

.macro _ds_store_b8_d16_hi dst src offset
    ds_write_b8_d16_hi \dst \src \offset
.endm

.macro _ds_store_b16 dst src offset
    ds_write_b16 \dst \src \offset
.endm

.macro _ds_store_b16_d16_hi dst src offset
    ds_write_b16_d16_hi \dst \src \offset
.endm

.macro _ds_store_b32 dst src offset
    ds_write_b32 \dst \src \offset
.endm

.macro _ds_store_b64 dst src offset
    ds_write_b64 \dst \src \offset
.endm

.macro _ds_store_b128 dst src offset
    ds_write_b128 \dst \src \offset
.endm

.macro _ds_load2_b32 dst src offset1 offset2
    ds_read2_b32 \dst \src \offset1 \offset2
.endm

.macro _ds_load2_b64 dst src offset1 offset2
    ds_read2_b64 \dst \src \offset1 \offset2
.endm

.macro _ds_store2_b32 dst src offset1 offset2
    ds_write2_b32 \dst \src \offset1 \offset2
.endm

.macro _ds_store2_b64 dst src offset1 offset2
    ds_write2_b64 \dst \src \offset1 \offset2
.endm


/* buffer memory operation macros */
.macro _buffer_load_b32 dst voffset base soffset offen ioffset md0 md1 md2
    buffer_load_dword \dst \voffset \base \soffset \offen \ioffset \md0 \md1 \md2
.endm

.macro _buffer_load_b64 dst voffset base soffset offen ioffset md0 md1 md2
    buffer_load_dwordx2 \dst \voffset \base \soffset \offen \ioffset \md0 \md1 \md2
.endm

.macro _buffer_load_b96 dst voffset base soffset offen ioffset md0 md1 md2
    buffer_load_dwordx3 \dst \voffset \base \soffset \offen \ioffset \md0 \md1 \md2
.endm

.macro _buffer_load_b128 dst voffset base soffset offen ioffset md0 md1 md2
    buffer_load_dwordx4 \dst \voffset \base \soffset \offen \ioffset \md0 \md1 \md2
.endm

.macro _buffer_load_d16_b16 dst voffset base soffset offen ioffset md0 md1 md2
    buffer_load_short_d16 \dst \voffset \base \soffset \offen \ioffset \md0 \md1 \md2
.endm

.macro _buffer_load_d16_hi_b16 dst voffset base soffset offen ioffset md0 md1 md2
    buffer_load_short_d16_hi \dst \voffset \base \soffset \offen \ioffset \md0 \md1 \md2
.endm

.macro _buffer_load_d16_u8 dst voffset base soffset offen ioffset md0 md1 md2
    buffer_load_ubyte_d16 \dst \voffset \base \soffset \offen \ioffset \md0 \md1 \md2
.endm

.macro _buffer_load_d16_hi_u8 dst voffset base soffset offen ioffset md0 md1 md2
    buffer_load_ubyte_d16_hi \dst \voffset \base \soffset \offen \ioffset \md0 \md1 \md2
.endm

.macro _buffer_load_u16 dst voffset base soffset offen ioffset md0 md1 md2
    buffer_load_ushort \dst \voffset \base \soffset \offen \ioffset \md0 \md1 \md2
.endm

.macro _buffer_load_b32_dtl voffset base soffset offen ioffset md0 md1 md2
    buffer_load_dword \voffset \base \soffset \offen \ioffset \md0 \md1 \md2
.endm

.macro _buffer_load_b64_dtl voffset base soffset offen ioffset md0 md1 md2
    buffer_load_dwordx2 \voffset \base \soffset \offen \ioffset \md0 \md1 \md2
.endm

.macro _buffer_load_b128_dtl voffset base soffset offen ioffset md0 md1 md2
    buffer_load_dwordx4 \voffset \base \soffset \offen \ioffset \md0 \md1 \md2
.endm

.macro _buffer_load_u16_dtl voffset base soffset offen ioffset md0 md1 md2
    buffer_load_ushort \voffset \base \soffset \offen \ioffset \md0 \md1 \md2
.endm

.macro _buffer_store_b32 src voffset base soffset offen ioffset md0 md1 md2
    buffer_store_dword \src \voffset \base \soffset \offen \ioffset \md0 \md1 \md2
.endm

.macro _buffer_store_b64 src voffset base soffset offen ioffset md0 md1 md2
    buffer_store_dwordx2 \src \voffset \base \soffset \offen \ioffset \md0 \md1 \md2
.endm

.macro _buffer_store_b96 src voffset base soffset offen ioffset md0 md1 md2
    buffer_store_dwordx3 \src \voffset \base \soffset \offen \ioffset \md0 \md1 \md2
.endm

.macro _buffer_store_b128 src voffset base soffset offen ioffset md0 md1 md2
    buffer_store_dwordx4 \src \voffset \base \soffset \offen \ioffset \md0 \md1 \md2
.endm

.macro _buffer_store_b16 src voffset base soffset offen ioffset md0 md1 md2
    buffer_store_short \src \voffset \base \soffset \offen \ioffset \md0 \md1 \md2
.endm

.macro _buffer_store_d16_hi_b16 src voffset base soffset offen ioffset md0 md1 md2
    buffer_store_short_d16_hi \src \voffset \base \soffset \offen \ioffset \md0 \md1 \md2
.endm

.macro _buffer_store_b8 src voffset base soffset offen ioffset md0 md1 md2
    buffer_store_byte \src \voffset \base \soffset \offen \ioffset \md0 \md1 \md2
.endm

.macro _buffer_store_d16_hi_b8 src voffset base soffset offen ioffset md0 md1 md2
    buffer_store_byte_d16_hi \src \voffset \base \soffset \offen \ioffset \md0 \md1 \md2
.endm

.macro _buffer_atomic_cmpswap_b32 dst voffset base soffset offen ioffset md0 md1 md2
    buffer_atomic_cmpswap \dst \voffset \base \soffset \offen \ioffset \md0 \md1 \md2
.endm

.macro _buffer_atomic_cmpswap_b64 dst voffset base soffset offen ioffset md0 md1 md2
    buffer_atomic_cmpswap_x2 \dst \voffset \base \soffset \offen \ioffset \md0 \md1 \md2
.endm


/* buffer memory operation macros */
.macro _global_load_b32 dst base src ioffset md0 md1 md2
    global_load_dword \dst \base \src \ioffset \md0 \md1 \md2
.endm

.macro _global_load_b64 dst base src ioffset md0 md1 md2
    global_load_dwordx2 \dst \base \src \ioffset \md0 \md1 \md2
.endm

.macro _global_load_b96 dst base src ioffset md0 md1 md2
    global_load_dwordx3 \dst \base \src \ioffset \md0 \md1 \md2
.endm

.macro _global_load_b128 dst base src ioffset md0 md1 md2
    global_load_dwordx4 \dst \base \src \ioffset \md0 \md1 \md2
.endm

.macro _global_load_d16_b16 dst base src ioffset md0 md1 md2
    global_load_short_d16 \dst \base \src \ioffset \md0 \md1 \md2
.endm

.macro _global_load_d16_hi_b16 dst base src ioffset md0 md1 md2
    global_load_short_d16_hi \dst \base \src \ioffset \md0 \md1 \md2
.endm

.macro _global_load_d16_u8 dst base src ioffset md0 md1 md2
    global_load_ubyte_d16 \dst \base \src \ioffset \md0 \md1 \md2
.endm

.macro _global_load_d16_hi_u8 dst base src ioffset md0 md1 md2
    global_load_ubyte_d16_hi \dst \base \src \ioffset \md0 \md1 \md2
.endm

.macro _global_load_u16 dst base src ioffset md0 md1 md2
    global_load_ushort \dst \base \src \ioffset \md0 \md1 \md2
.endm

.macro _global_store_b32 base src src2 md0 md1 md2
    global_store_dword \base \src \src2 \md0 \md1 \md2
.endm

.macro _global_store_b64 base src src2 md0 md1 md2
    global_store_dwordx2 \base \src \src2 \md0 \md1 \md2
.endm

.macro _global_store_b96 base src src2 md0 md1 md2
    global_store_dwordx3 \base \src \src2 \md0 \md1 \md2
.endm

.macro _global_store_b128 base src src2 md0 md1 md2
    global_store_dwordx4 \base \src \src2 \md0 \md1 \md2
.endm

.macro _global_store_d16_b16 base src src2 md0 md1 md2
    global_store_short \base \src \src2 \md0 \md1 \md2
.endm

.macro _global_store_d16_hi_b16 base src src2 md0 md1 md2
    global_store_short_d16_hi \base \src \src2 \md0 \md1 \md2
.endm

.macro _global_store_d16_u8 base src src2 md0 md1 md2
    global_store_ubyte_d16 \base \src \src2 \md0 \md1 \md2
.endm

.macro _global_store_d16_hi_u8 base src src2 md0 md1 md2
    global_store_ubyte_d16_hi \base \src \src2 \md0 \md1 \md2
.endm

.macro _global_store_u16 base src src2 md0 md1 md2
    global_store_ushort \base \src \src2 \md0 \md1 \md2
.endm

.macro _global_atomic_cmpswap_b32 tmp base data src ioffset md
    global_atomic_cmpswap \tmp \base \data \src \ioffset \md
.endm

.macro _global_atomic_cmpswap_b64 tmp base data src ioffset md
    global_atomic_cmpswap_x2 \tmp \base \data \src \ioffset \md
.endm


/******************************************/
/* Magic div and mod functions            */
/******************************************/
.macro V_MAGIC_DIV dstIdx:req, dividend:req, magicNumber:req, magicShift:req, magicA:req
    v_mul_hi_u32 v[\dstIdx+1], \dividend, \magicNumber
    v_mul_lo_u32 v[\dstIdx+0], \dividend, \magicA
    _v_add_u32 v[\dstIdx+0], v[\dstIdx+0], v[\dstIdx+1]
    v_lshrrev_b32 v[\dstIdx+0], \magicShift, v[\dstIdx+0]
.endm

/******************************************/
/* VGPR Assignments                       */
/******************************************/
/* ValuC range: [0-0), serializedStore enabled */
.set vgprValuC, 0
/* ValuA/B   Xn=PLR buffer idx,  In=InnerUnroll idx */
.set vgprG2LA, 22
.set vgprG2LA0, 22
.set vgprG2LA1, 86
.set vgprValuB_X0_I0, 0
.set vgprValuB_X1_I0, 2
.set vgprG2LB, 150
.set vgprLocalWriteAddrB, 4
.set vgprGlobalReadOffsetA, 5
.set vgprGlobalReadOffsetB, 21
.set vgprLocalReadAddrB, 152
.set vgprSerial, 153
/* Num VGPR=256 */
/* Num AccVGPR=128 */

/******************************************/
/* SGPR Assignments                       */
/******************************************/
.set sgprKernArgAddress, 0 // (2)
.set sgprWorkGroup0, 2 // (1)
.set sgprWorkGroup1, 3 // (1)
.set sgprWorkGroup2, 4 // (1)
.set sgprLoopCounterL, 5 // (1)
.set sgprOrigLoopCounter, 6 // (1)
.set sgprSrdA, 8 // (4)
.set sgprSrdB, 12 // (4)
.set sgprTensor2dSizeA, 16 // (2)
.set sgprTensor2dSizeB, 18 // (2)
.set sgprAddressD, 20 // (2)
.set sgprAddressC, 22 // (2)
.set sgprAddressA, 24 // (2)
.set sgprAddressB, 26 // (2)
.set sgprAlpha, 28 // (2)
.set sgprBeta, 30 // (2)
.set sgprStridesD, 32 // (2)
.set sgprStridesC, 34 // (2)
.set sgprStridesA, 36 // (2)
.set sgprStridesB, 38 // (2)
.set sgprSizesFree, 40 // (3)
.set sgprSizesSum, 43 // (1)
.set sgprNumWorkGroups0, 44 // (1)
.set sgprNumWorkGroups1, 45 // (1)
.set sgprShadowLimitA, 0 // (2)
.set sgprShadowLimitB, 24 // (2)
.set sgprGlobalReadIncsA, 7 // (1)
.set sgprGlobalReadIncsB, 26 // (1)
/* max SGPR=58 */

/* Size Assignments */
.set sgprSizeI, sgprSizesFree+0
.set sgprSizeJ, sgprSizesFree+1
.set sgprSizeK, sgprSizesFree+2
.set sgprSizeL, sgprSizesSum+0

/* Stride Assignments */
.set constStrideD0I, 1
.set sgprStrideD1J, sgprStridesD+0
.set sgprStrideDK, sgprStridesD+1
.set constStrideC0I, 1
.set sgprStrideC1J, sgprStridesC+0
.set sgprStrideCK, sgprStridesC+1
.set constStrideA0I, 1
.set sgprStrideAL, sgprStridesA+0
.set sgprStrideAK, sgprStridesA+1
.set constStrideBL, 1
.set sgprStrideB1J, sgprStridesB+0
.set sgprStrideBK, sgprStridesB+1

.set MT0, 1024
.set MT1, 16
.set DepthU, 8
.set GSU, 1
.set BpeA, 8
.set BpeALog2, 3
.set BpeB, 8
.set BpeBLog2, 3
/* Number of elements to shift-left SRD */
.set SrdShiftLeftA, 2
.set SrdShiftLeftB, 1
/* 2GB limit - set offsets to -1 to exceed this and clamp */
.set BufferLimitA, 0xffffffff
.set BufferLimitB, 0xffffffff
.set BufferOOB, 0xfffff000

/******************************************/
/* Bits 127:96 of SRD.                    */
/* hex: 0x00020000                        */
/* dst_sel_x (3b): 0                      */
/* dst_sel_y (3b): 0                      */
/* dst_sel_z (3b): 0                      */
/* dst_sel_w (3b): 0                      */
/* num_format (3b): 0                     */
/* data_format (4b): 4                    */
/* user_vm_enable (1b): 0                 */
/* user_vm_mode (1b): 0                   */
/* index_stride (2b): 0                   */
/* add_tid_enable (1b): 0                 */
/* _unusedA (3b): 0                       */
/* nv (1b): 0                             */
/* _unusedB (2b): 0                       */
/* type (2b): 0                           */
/******************************************/
.set Srd127_96, 0x00020000

/* Global Offset D */
.macro GLOBAL_OFFSET_D vgprAddr:req vgprOffset0I:req vgprOffset1J:req sgprOffsetK:req vgprTmp:req
v_mul_lo_u32 v[\vgprTmp+0], s[sgprStrideD1J], v[\vgprOffset1J] // mul d1 lower
v_mul_hi_u32 v[\vgprTmp+1], s[sgprStrideD1J], v[\vgprOffset1J] // mul d1 upper
_v_add_co_u32 v[\vgprAddr+0], vcc, v[\vgprOffset0I], v[\vgprTmp+0] // accumulate K lower
_v_addc_co_u32 v[\vgprAddr+1], vcc, v[\vgprTmp+1], 0, vcc // accumulate K upper
v_mov_b32 v[\vgprTmp+2], s[\sgprOffsetK]           // sgprOffset -> vgprTmp+2
v_mul_lo_u32 v[\vgprTmp+0], s[sgprStrideDK], v[\vgprTmp+2] // other stride mul d2 lower
v_mul_hi_u32 v[\vgprTmp+1], s[sgprStrideDK], v[\vgprTmp+2] // mul d2 upper
_v_add_co_u32 v[\vgprAddr+0], vcc, v[\vgprAddr+0], v[\vgprTmp+0] // accumulate K lower
_v_addc_co_u32 v[\vgprAddr+1], vcc, v[\vgprTmp+1], v[\vgprAddr+1], vcc // accumulate K upper
v_lshlrev_b64 v[\vgprAddr+0:\vgprAddr+1], 0x3, v[\vgprAddr+0:\vgprAddr+1] // offset *= bytes/element
.endm

/* Global Offset C */
.macro GLOBAL_OFFSET_C vgprAddr:req vgprOffset0I:req vgprOffset1J:req sgprOffsetK:req vgprTmp:req
v_mul_lo_u32 v[\vgprTmp+0], s[sgprStrideC1J], v[\vgprOffset1J] // mul d1 lower
v_mul_hi_u32 v[\vgprTmp+1], s[sgprStrideC1J], v[\vgprOffset1J] // mul d1 upper
_v_add_co_u32 v[\vgprAddr+0], vcc, v[\vgprOffset0I], v[\vgprTmp+0] // accumulate K lower
_v_addc_co_u32 v[\vgprAddr+1], vcc, v[\vgprTmp+1], 0, vcc // accumulate K upper
v_mov_b32 v[\vgprTmp+2], s[\sgprOffsetK]           // sgprOffset -> vgprTmp+2
v_mul_lo_u32 v[\vgprTmp+0], s[sgprStrideCK], v[\vgprTmp+2] // other stride mul d2 lower
v_mul_hi_u32 v[\vgprTmp+1], s[sgprStrideCK], v[\vgprTmp+2] // mul d2 upper
_v_add_co_u32 v[\vgprAddr+0], vcc, v[\vgprAddr+0], v[\vgprTmp+0] // accumulate K lower
_v_addc_co_u32 v[\vgprAddr+1], vcc, v[\vgprTmp+1], v[\vgprAddr+1], vcc // accumulate K upper
v_lshlrev_b64 v[\vgprAddr+0:\vgprAddr+1], 0x3, v[\vgprAddr+0:\vgprAddr+1] // offset *= bytes/element
.endm

/* Global Offset A */
.macro GLOBAL_OFFSET_A vgprAddr:req vgprOffset0I:req vgprOffsetL:req vgprTmp:req
v_mul_lo_u32 v[\vgprTmp+0], s[sgprStrideAL], v[\vgprOffsetL] // mul d1 lower
_v_add_co_u32 v[\vgprAddr+0], vcc, v[\vgprOffset0I], v[\vgprTmp+0] // accumulate K lower
_v_add_u32 v[\vgprAddr+0], 0x2, v[\vgprAddr+0]     // add prepad for pointer shift
v_lshlrev_b32 v[\vgprAddr+0], 0x3, v[\vgprAddr+0]  // offset *= bytes/element
.endm

/* Global Offset B */
.macro GLOBAL_OFFSET_B vgprAddr:req vgprOffsetL:req vgprOffset1J:req vgprTmp:req
v_mul_lo_u32 v[\vgprTmp+0], s[sgprStrideB1J], v[\vgprOffset1J] // mul d1 lower
_v_add_co_u32 v[\vgprAddr+0], vcc, v[\vgprOffsetL], v[\vgprTmp+0] // accumulate K lower
_v_add_u32 v[\vgprAddr+0], 0x1, v[\vgprAddr+0]     // add prepad for pointer shift
v_lshlrev_b32 v[\vgprAddr+0], 0x3, v[\vgprAddr+0]  // offset *= bytes/element
.endm

/******************************************/
/* Dynamic Scalar Divide: vQuotient=vDividend/vDivisor; vRemainder=vDividend%vDivisor; */
/******************************************/
.macro DYNAMIC_VECTOR_DIVIDE vQuotient vRemainder vDividend vDivisor vTmp0 vTmp1 sTmp
v_cvt_f32_u32 v[\vQuotient], v[\vDivisor]          // 
v_rcp_f32 v[\vQuotient], v[\vQuotient]             // 
v_mul_f32 v[\vQuotient], 0x4f800000, v[\vQuotient] // 
v_cvt_u32_f32 v[\vQuotient], v[\vQuotient]         // 
v_mul_lo_u32 v[\vRemainder], v[\vDivisor], v[\vQuotient] // 
v_mul_hi_u32 v[\vTmp0], v[\vDivisor], v[\vQuotient] // 
_v_sub_co_u32 v[\vTmp1], vcc, 0x0, v[\vRemainder]  // 
v_cmp_ne_i32 s[\sTmp:\sTmp+1], 0x0, v[\vTmp0]      // 
v_cndmask_b32 v[\vRemainder], v[\vTmp1], v[\vRemainder], s[\sTmp:\sTmp+1] // 
v_mul_hi_u32 v[\vRemainder], v[\vRemainder], v[\vQuotient] // 
_v_sub_co_u32 v[\vTmp0], vcc, v[\vQuotient], v[\vRemainder] // 
_v_add_co_u32 v[\vQuotient], vcc, v[\vQuotient], v[\vRemainder] // 
v_cndmask_b32 v[\vQuotient], v[\vQuotient], v[\vTmp0], s[\sTmp:\sTmp+1] // 
v_mul_hi_u32 v[\vQuotient], v[\vQuotient], v[\vDividend] // 
v_mul_lo_u32 v[\vRemainder], v[\vQuotient], v[\vDivisor] // 
_v_sub_co_u32 v[\vTmp0], vcc, v[\vDividend], v[\vRemainder] // 
v_cmp_ge_u32 s[\sTmp:\sTmp+1], v[\vDividend], v[\vRemainder] // 
_v_add_co_u32 v[\vRemainder], vcc, 0x1, v[\vQuotient] // 
_v_add_co_u32 v[\vTmp1], vcc, -1, v[\vQuotient]    // 
v_cmp_le_u32 vcc, v[\vDivisor], v[\vTmp0]          // 
s_and_b64 vcc, s[\sTmp:\sTmp+1], vcc               // 
v_cndmask_b32 v[\vQuotient], v[\vQuotient], v[\vRemainder], vcc // 
v_cndmask_b32 v[\vQuotient], v[\vTmp1], v[\vQuotient], s[\sTmp:\sTmp+1] // 
v_cmp_ne_i32 vcc, 0x0, v[\vDivisor]                // 
v_cndmask_b32 v[\vQuotient], -1, v[\vQuotient], vcc // final result
v_mul_lo_u32 v[\vRemainder], v[\vQuotient], v[\vDivisor] // 
_v_sub_co_u32 v[\vRemainder], vcc, v[\vDividend], v[\vRemainder] // final result
.endm


	;; [unrolled: 1-line block ×3, first 2 shown]
/******************************************/
/* Allocate Resources                     */
/******************************************/

Cijk_Ailk_Bljk_DB_MT1024x16x8_MI16x16x4x1_SN_1LDSB0_APM1_AF0EM2_AF1EM1_AMAS3_ASE_ASGT_ASLT117_ASM_ASAE01_ASCE01_ASEM1_BL1_BS0_CLR0_DTVA1_DTVB0_ETSP_EPS1_ELFLR0_EMLL0_FSSC10_FL2_GLVWA2_GLVWB1_GRCGA1_GRPM1_GRVW2_GSU1_GSUASB_GLS0_IU1_K1_LBSPPA0_LBSPPB128_LPA0_LPB2_LRVW1_LWPMn1_MIAV0_MKFGSU256_NTA0_NTB0_NTC3_NTD3_NEPBS4_NLCA8_NLCB1_ONLL1_PGR2_PLR3_PKA0_SIA3_SLW1_SS1_SU0_SUM0_SUS0_SPO1_SRVW0_SSO6_SVW2_TSGRA0_TSGRB0_TT16_16_TLDS1_UMLDSA0_UMLDSB1_USFGROn1_VAW1_VSn1_VW2_VWB1_VFLRP0_WSGRA0_WSGRB0_WG64_4_1_WGM1_preloaded: // Kernel start when preloading
s_setprio 3                                        // optimization store

/* Load Kernel Args */
_s_load_b512 s[16:31], s[sgprKernArgAddress:sgprKernArgAddress+1], 0x0 // 
_s_load_b256 s[32:39], s[sgprKernArgAddress:sgprKernArgAddress+1], 0x40 // 
_s_load_b128 s[40:43], s[sgprKernArgAddress:sgprKernArgAddress+1], 0x60 // 
_s_load_b64 s[44:45], s[sgprKernArgAddress:sgprKernArgAddress+1], 0x70 // 
s_mov_b32 m0, 0xc80                                // LDS clamp at 3200 bytes
v_mov_b32 v[vgprSerial], v0                        // thread serial id

/******************************************/
/* Local Read Addresses                   */
/******************************************/


/* local read addresses: tile assignments a/b */

/*lr1J*/
v_and_b32 v1, 63, v[vgprSerial]                    // 0. thread id in wave: wtid = tid % wavelength(64)
v_and_b32 v0, 15, v1                               // 1. N offset: nIdx = wtid % MI_N(16)
v_lshlrev_b32 v0, 0x3, v0                          // 1. N offset: nOffset = nIdx * nStride(8)
                                                   // 2. block offset: bnIdx = bnIdx % num1DBlocks(1) is 0. do nothing
                                                   // 4. apply VectorWidth: bnOffset = bnOffset * vw(1) (multiplier is 1, do nothing)
v_lshrrev_b32 v1, 4, v1                            // 5. K offset: kIdx = wtid / (MIN(16) * MIBB(1))
                                                   // 5. K offset: lrKOffset = kIdx * mStride(1) (multiplier is 1, do nothing)
_v_add_u32 v0, v1, v0                              // 6. offset in wave: lrOffset = bnOffset + lrKOffset


/* local read addresses: final offsets a */


	;; [unrolled: 1-line block ×3, first 2 shown]
/* local read addresses: final offsets b */

v_lshlrev_b32 v[vgprLocalReadAddrB], 0x3, v0       // Final Offset: offset = (lro1)*bpe
v_lshrrev_b32 v0, 7, v[vgprLocalReadAddrB]         // Final Offset: padding 2 per block 128
v_lshlrev_b32 v0, 0x4, v0                          // Final Offset: padding 2 per block 128
_v_add_u32 v[vgprLocalReadAddrB], v0, v[vgprLocalReadAddrB] // Final Offset: add padding 2 per block 128


/* local read addresses: declare addresses a */

/* N/A */


/* local read addresses: declare addresses b */


	;; [unrolled: 1-line block ×3, first 2 shown]
/* global read addresses: tile offset assignment a */

/* LVCA = 64 */
/* v0 = (local)groA-tile = serial%LVCA (note (wgA*MTA) will be added to SRD) */
/* v1 = groA-unroll = serial/LVCA */
v_and_b32 v1, 63, v[vgprSerial]                    // 0. thread id in wave: wtid = tid % wavelength(64)
v_and_b32 v0, 15, v1                               // 1. N offset: nIdx = wtid % MI_N(16)
                                                   // 1. N offset: nOffset = nIdx * nStride(1) (multiplier is 1, do nothing)
                                                   // 2. block offset: bnIdx = bnIdx % num1DBlocks(1) is 0. do nothing
                                                   // 4. apply VectorWidth: bnOffset = bnOffset * vw(1) (multiplier is 1, do nothing)
v_lshrrev_b32 v1, 4, v1                            // 5. K offset: kIdx = wtid / (MIN(16) * MIBB(1))
v_lshrrev_b32 v3, 6, v[vgprSerial]                 // v3 = v[vgprSerial] / 64
v_and_b32 v2, 3, v3                                // v2 = v3 % 4
v_lshlrev_b32 v2, 0x4, v2                          // v2 = v2 * 16
_v_add_u32 v0, v2, v0                              // 
                                                   // v1 = v1 * 1 (multiplier is 1, do nothing)
/* gro-tile *= glvw */
v_lshlrev_b32 v0, 0x1, v0                          // v0 = v0 * 2


/* global read addresses: tile offset assignment b */

/* LVCB = 8 */
/* v2 = (local)groB-tile = serial/LVCB (note (wgB*MTB) will be added to SRD) */
/* v3 = groB-unroll = serial%LVCB */
v_lshrrev_b32 v2, 3, v[vgprSerial]                 // v2 = v[vgprSerial] / 8
v_and_b32 v3, 7, v[vgprSerial]                     // v3 = v[vgprSerial] % 8
/* gro-unroll *= glvw */
                                                   // v3 = v3 * 1 (multiplier is 1, do nothing)


/******************************************/
/* Local Write Addresses                  */
/******************************************/

/* lwaTileAssignmentA = v0 */

/* lwaTileAssignmentB = v2 */

/* lwaUnrollAssignmentA = v1 */

/* lwaUnrollAssignmentB = v3 */


/* local write addresses: first offset a */


	;; [unrolled: 1-line block ×3, first 2 shown]
/* local write addresses: first offset b */

v_mul_u32_u24 v[vgprLocalWriteAddrB], 0x8, v2      // lwBL**(DepthU_Compute + PAD)
_v_add_lshl_u32 v[vgprLocalWriteAddrB], v3, v[vgprLocalWriteAddrB], 0x3 // lwFOB = (lwBB + lwBL*(DepthU+PAD))*bpe
v_lshrrev_b32 v154, 7, v[vgprLocalWriteAddrB]      // padding 2 per block 128
v_lshlrev_b32 v154, 0x4, v154                      // padding 2 per block 128
_v_add_u32 v[vgprLocalWriteAddrB], v154, v[vgprLocalWriteAddrB] // add padding 2 per block 128
s_mov_b32 s46, 128                                 // lsc*lsp=8*16
v_cmp_lt_u32 vcc, v[vgprSerial], s46               // fractional: ensure tid < global read tile elements
v_mov_b32 v154, 0xf00000                           // 
v_cndmask_b32 v[vgprLocalWriteAddrB], v154, v[vgprLocalWriteAddrB], vcc // Mask load so out-of-gr-tile bounds returns 0







s_waitcnt lgkmcnt(0)                               // wait for 120 bytes of kern args
s_sub_u32 s[sgprSrdA+0], s[sgprAddressA+0], 16     // pre-pad to make room for possible pointer shift
s_subb_u32 s[sgprSrdA+1], s[sgprAddressA+1], 0     // pre-pad to make room for possible pointer shift
s_sub_u32 s[sgprSrdB+0], s[sgprAddressB+0], 8      // pre-pad to make room for possible pointer shift
s_subb_u32 s[sgprSrdB+1], s[sgprAddressB+1], 0     // pre-pad to make room for possible pointer shift

.set AddressA, UNDEF
.set AddressB, UNDEF

/* Short circuit condition if Alpha == 0, then sumDims=0 */
v_cmp_eq_f64 vcc, s[sgprAlpha:sgprAlpha+1], 0.0    // Alpha == 0.0 ?
s_cbranch_vccz label_AlphaNonZero                  // branch if Alpha != 0
s_mov_b32 s[sgprSizesSum+0], 0x0                   // Set summation dim=0 if Alpha == 0
label_AlphaNonZero:


	;; [unrolled: 1-line block ×3, first 2 shown]
/******************************************/
/* Begin setupNewTile, isPap=False           */
/******************************************/


/* global read addresses: work-group */

/* graWorkGroup mapping */


/* global read addresses: unroll assignment a */

/* v1 */


/* global read addresses: unroll assignment b */

/* v3 */


/* global read addresses: other free assignments */

/* s[sgprWorkGroup2] */


/* global read addresses: tile offsets a */

v_mov_b32 v154, v0                                 // groA0I_0
_v_add_co_u32 v155, vcc, 128, v154                 // groA0I_1 += LSCA
_v_add_co_u32 v156, vcc, 128, v155                 // groA0I_2 += LSCA
_v_add_co_u32 v157, vcc, 128, v156                 // groA0I_3 += LSCA
_v_add_co_u32 v158, vcc, 128, v157                 // groA0I_4 += LSCA
_v_add_co_u32 v159, vcc, 128, v158                 // groA0I_5 += LSCA
_v_add_co_u32 v160, vcc, 128, v159                 // groA0I_6 += LSCA
_v_add_co_u32 v161, vcc, 128, v160                 // groA0I_7 += LSCA


/* global read addresses: tile offsets b */

v_mov_b32 v162, v2                                 // groB1J_0


/* global read addresses: unroll offsets a */

v_mov_b32 v163, v1                                 // groAL_0
_v_add_co_u32 v164, vcc, 4, v163                   // groAL_1 + LSPA


/* global read addresses: unroll offsets b */

v_mov_b32 v165, v3                                 // groBL_0


/* global read addresses: final offsets a */

GLOBAL_OFFSET_A vgprGlobalReadOffsetA+0, 154, 163, 166 // gROA_0_0_0_0
GLOBAL_OFFSET_A vgprGlobalReadOffsetA+1, 155, 163, 166 // gROA_1_0_0_0
GLOBAL_OFFSET_A vgprGlobalReadOffsetA+2, 156, 163, 166 // gROA_2_0_0_0
GLOBAL_OFFSET_A vgprGlobalReadOffsetA+3, 157, 163, 166 // gROA_3_0_0_0
GLOBAL_OFFSET_A vgprGlobalReadOffsetA+4, 158, 163, 166 // gROA_4_0_0_0
GLOBAL_OFFSET_A vgprGlobalReadOffsetA+5, 159, 163, 166 // gROA_5_0_0_0
GLOBAL_OFFSET_A vgprGlobalReadOffsetA+6, 160, 163, 166 // gROA_6_0_0_0
GLOBAL_OFFSET_A vgprGlobalReadOffsetA+7, 161, 163, 166 // gROA_7_0_0_0
GLOBAL_OFFSET_A vgprGlobalReadOffsetA+8, 154, 164, 166 // gROA_0_0_1_0
GLOBAL_OFFSET_A vgprGlobalReadOffsetA+9, 155, 164, 166 // gROA_1_0_1_0
GLOBAL_OFFSET_A vgprGlobalReadOffsetA+10, 156, 164, 166 // gROA_2_0_1_0
GLOBAL_OFFSET_A vgprGlobalReadOffsetA+11, 157, 164, 166 // gROA_3_0_1_0
GLOBAL_OFFSET_A vgprGlobalReadOffsetA+12, 158, 164, 166 // gROA_4_0_1_0
GLOBAL_OFFSET_A vgprGlobalReadOffsetA+13, 159, 164, 166 // gROA_5_0_1_0
GLOBAL_OFFSET_A vgprGlobalReadOffsetA+14, 160, 164, 166 // gROA_6_0_1_0
GLOBAL_OFFSET_A vgprGlobalReadOffsetA+15, 161, 164, 166 // gROA_7_0_1_0


/* global read addresses: final offsets b */

GLOBAL_OFFSET_B vgprGlobalReadOffsetB+0, 165, 162, 154 // gROB_0_0_0_0
// Offset only valid for 128/256 threads inside the PerLoadTile
s_mov_b32 s48, 128                                 // 
v_cmp_lt_u32 vcc, v[vgprSerial], s48               // tid < valid-tid
s_mov_b32 s48, BufferOOB                           // 
v_mov_b32 v157, s48                                // 
v_cndmask_b32 v[vgprGlobalReadOffsetB+0], v157, v[vgprGlobalReadOffsetB+0], vcc // Mask load so OOB will return 0


/* global read addresses: addresses a */

/* max read offset = size[n] * stride[n-1] */
s_mul_hi_u32 s51, s[sgprWorkGroup0], 1024          // WorkGroup[01] * MT
s_mul_i32 s50, s[sgprWorkGroup0], 1024             // WorkGroup[01] * MT
s_sub_u32 s[sgprShadowLimitA+0], s[sgprTensor2dSizeA], s50 // sub tileStart
s_subb_u32 s[sgprShadowLimitA+1], s[sgprTensor2dSizeA+1], s51 // sub tileStart
s_lshl_b64 s[sgprShadowLimitA:sgprShadowLimitA+1], s[sgprShadowLimitA:sgprShadowLimitA+1], 0x3 // Set limit to use bytes
s_add_u32 s[sgprShadowLimitA+0], s[sgprShadowLimitA+0], 16 // extend limit for pre-pad
s_addc_u32 s[sgprShadowLimitA+1], s[sgprShadowLimitA+1], 0 // extend limit for pre-pad
s_cmp_eq_u32 s[sgprShadowLimitA+1], 0              // are we within 2^32?
s_cselect_b32 s[sgprSrdA+2], s[sgprShadowLimitA+0], BufferLimitA // Move shadow to real if we are within 2^32
s_mul_hi_u32 s49, s[sgprStrideAK], s[sgprWorkGroup2] // Stride*WG
s_mul_i32 s48, s[sgprStrideAK], s[sgprWorkGroup2]  // Stride*WG
s_add_u32 s50, s50, s48                            // accum wg term to tilestart
s_addc_u32 s51, s51, s49                           // accum wg term to tilestart
s_lshl_b64 s[50:51], s[50:51], 0x3                 // tileStart *= BPE
s_add_u32 s[sgprSrdA+0], s[sgprSrdA+0], s50        // SRD base = Address+ tileStart0
s_addc_u32 s[sgprSrdA+1], s[sgprSrdA+1], s51       // SRD base = Address+ tileStart1
s_mov_b32 s[sgprSrdA+3], Srd127_96                 // Set bits 127_96 in SRD


/* global read addresses: addresses b */

/* max read offset = size[n] * stride[n-1] */
s_mul_hi_u32 s51, s[sgprWorkGroup1], 16            // WorkGroup[01] * MT
s_mul_i32 s50, s[sgprWorkGroup1], 16               // WorkGroup[01] * MT
s_mul_hi_u32 s51, s50, s[sgprStrideB1J]            // tlu=0, scaled tile-offset by stride
s_mul_i32 s50, s50, s[sgprStrideB1J]               // tlu=0, scaled tile-offset by stride
s_sub_u32 s[sgprShadowLimitB+0], s[sgprTensor2dSizeB], s50 // sub tileStart
s_subb_u32 s[sgprShadowLimitB+1], s[sgprTensor2dSizeB+1], s51 // sub tileStart
s_lshl_b64 s[sgprShadowLimitB:sgprShadowLimitB+1], s[sgprShadowLimitB:sgprShadowLimitB+1], 0x3 // Set limit to use bytes
s_add_u32 s[sgprShadowLimitB+0], s[sgprShadowLimitB+0], 8 // extend limit for pre-pad
s_addc_u32 s[sgprShadowLimitB+1], s[sgprShadowLimitB+1], 0 // extend limit for pre-pad
s_cmp_eq_u32 s[sgprShadowLimitB+1], 0              // are we within 2^32?
s_cselect_b32 s[sgprSrdB+2], s[sgprShadowLimitB+0], BufferLimitB // Move shadow to real if we are within 2^32
s_mul_hi_u32 s49, s[sgprStrideBK], s[sgprWorkGroup2] // Stride*WG
s_mul_i32 s48, s[sgprStrideBK], s[sgprWorkGroup2]  // Stride*WG
s_add_u32 s50, s50, s48                            // accum wg term to tilestart
s_addc_u32 s51, s51, s49                           // accum wg term to tilestart
s_lshl_b64 s[50:51], s[50:51], 0x3                 // tileStart *= BPE
s_add_u32 s[sgprSrdB+0], s[sgprSrdB+0], s50        // SRD base = Address+ tileStart0
s_addc_u32 s[sgprSrdB+1], s[sgprSrdB+1], s51       // SRD base = Address+ tileStart1
s_mov_b32 s[sgprSrdB+3], Srd127_96                 // Set bits 127_96 in SRD


/* global read addresses: increments a */

s_mul_i32 s[sgprGlobalReadIncsA+0], DepthU*BpeA, s[sgprStrideAL] // incrA unrollIdx)


/* global read addresses: increments b */

s_mov_b32 s[sgprGlobalReadIncsB+0], DepthU*BpeB    // incrB (unrollIdx)

/* declare loop num iterations */


s_add_i32 s[sgprLoopCounterL], 7, s[sgprSizesSum+0] // round up SizeSum / DepthU
s_lshr_b32 s[sgprLoopCounterL], s[sgprLoopCounterL], 3 // s[sgprLoopCounterL] = s[sgprLoopCounterL] / 8
s_mov_b32 s[sgprOrigLoopCounter], s[sgprLoopCounterL] // copy loop counter

/* local read addresses: init pointers a */


/* local read addresses: init pointers b */


/* localReadInitPointers */


/* prefetch: global -> local */

s_cmp_eq_u32 s[sgprLoopCounterL], 0                // at last iteration?
s_setprio 0                                        // optimization store
s_cbranch_scc1 ShadowInitStart_10                  // skip to ShadowInitStart iter b/c numIter==0


_buffer_load_b64 v[vgprG2LB+0:vgprG2LB+0+1], v[vgprGlobalReadOffsetB+0], s[sgprSrdB:sgprSrdB+3], 0, offen offset:0 // G -> Reg 0_0_0_0


_buffer_load_b128 v[vgprG2LA0+0:vgprG2LA0+0+3], v[vgprGlobalReadOffsetA+0], s[sgprSrdA:sgprSrdA+3], 0, offen offset:0 // G -> Reg 0_0_0_0
_buffer_load_b128 v[vgprG2LA0+4:vgprG2LA0+4+3], v[vgprGlobalReadOffsetA+1], s[sgprSrdA:sgprSrdA+3], 0, offen offset:0 // G -> Reg 1_0_0_0
_buffer_load_b128 v[vgprG2LA0+8:vgprG2LA0+8+3], v[vgprGlobalReadOffsetA+2], s[sgprSrdA:sgprSrdA+3], 0, offen offset:0 // G -> Reg 2_0_0_0
_buffer_load_b128 v[vgprG2LA0+12:vgprG2LA0+12+3], v[vgprGlobalReadOffsetA+3], s[sgprSrdA:sgprSrdA+3], 0, offen offset:0 // G -> Reg 3_0_0_0
_buffer_load_b128 v[vgprG2LA0+16:vgprG2LA0+16+3], v[vgprGlobalReadOffsetA+4], s[sgprSrdA:sgprSrdA+3], 0, offen offset:0 // G -> Reg 4_0_0_0
_buffer_load_b128 v[vgprG2LA0+20:vgprG2LA0+20+3], v[vgprGlobalReadOffsetA+5], s[sgprSrdA:sgprSrdA+3], 0, offen offset:0 // G -> Reg 5_0_0_0
_buffer_load_b128 v[vgprG2LA0+24:vgprG2LA0+24+3], v[vgprGlobalReadOffsetA+6], s[sgprSrdA:sgprSrdA+3], 0, offen offset:0 // G -> Reg 6_0_0_0
_buffer_load_b128 v[vgprG2LA0+28:vgprG2LA0+28+3], v[vgprGlobalReadOffsetA+7], s[sgprSrdA:sgprSrdA+3], 0, offen offset:0 // G -> Reg 7_0_0_0
_buffer_load_b128 v[vgprG2LA0+32:vgprG2LA0+32+3], v[vgprGlobalReadOffsetA+8], s[sgprSrdA:sgprSrdA+3], 0, offen offset:0 // G -> Reg 0_0_1_0
_buffer_load_b128 v[vgprG2LA0+36:vgprG2LA0+36+3], v[vgprGlobalReadOffsetA+9], s[sgprSrdA:sgprSrdA+3], 0, offen offset:0 // G -> Reg 1_0_1_0
_buffer_load_b128 v[vgprG2LA0+40:vgprG2LA0+40+3], v[vgprGlobalReadOffsetA+10], s[sgprSrdA:sgprSrdA+3], 0, offen offset:0 // G -> Reg 2_0_1_0
_buffer_load_b128 v[vgprG2LA0+44:vgprG2LA0+44+3], v[vgprGlobalReadOffsetA+11], s[sgprSrdA:sgprSrdA+3], 0, offen offset:0 // G -> Reg 3_0_1_0
_buffer_load_b128 v[vgprG2LA0+48:vgprG2LA0+48+3], v[vgprGlobalReadOffsetA+12], s[sgprSrdA:sgprSrdA+3], 0, offen offset:0 // G -> Reg 4_0_1_0
_buffer_load_b128 v[vgprG2LA0+52:vgprG2LA0+52+3], v[vgprGlobalReadOffsetA+13], s[sgprSrdA:sgprSrdA+3], 0, offen offset:0 // G -> Reg 5_0_1_0
_buffer_load_b128 v[vgprG2LA0+56:vgprG2LA0+56+3], v[vgprGlobalReadOffsetA+14], s[sgprSrdA:sgprSrdA+3], 0, offen offset:0 // G -> Reg 6_0_1_0
_buffer_load_b128 v[vgprG2LA0+60:vgprG2LA0+60+3], v[vgprGlobalReadOffsetA+15], s[sgprSrdA:sgprSrdA+3], 0, offen offset:0 // G -> Reg 7_0_1_0


/* global read inc A loopL */
s_add_u32 s[sgprSrdA+0], s[sgprSrdA+0], s[sgprGlobalReadIncsA+0] // gra SRD += inc(lower)
s_addc_u32  s[sgprSrdA+1], s[sgprSrdA+1], 0        // gra SRD += inc(upper)
s_sub_u32 s[sgprShadowLimitA+0], s[sgprShadowLimitA+0], s[sgprGlobalReadIncsA+0] // limit -= inc)
s_subb_u32 s[sgprShadowLimitA+1], s[sgprShadowLimitA+1], 0 // limit -= inc)
s_cmp_eq_u32 s[sgprShadowLimitA+1], 0              // are we within 2^32?
s_cmov_b32 s[sgprSrdA+2], s[sgprShadowLimitA+0]    // Move shadow to real if we are within 2^32

/* global read inc B loopL */
s_add_u32 s[sgprSrdB+0], s[sgprSrdB+0], s[sgprGlobalReadIncsB+0] // gra SRD += inc(lower)
s_addc_u32  s[sgprSrdB+1], s[sgprSrdB+1], 0        // gra SRD += inc(upper)
s_sub_u32 s[sgprShadowLimitB+0], s[sgprShadowLimitB+0], s[sgprGlobalReadIncsB+0] // limit -= inc)
s_subb_u32 s[sgprShadowLimitB+1], s[sgprShadowLimitB+1], 0 // limit -= inc)
s_cmp_eq_u32 s[sgprShadowLimitB+1], 0              // are we within 2^32?
s_cmov_b32 s[sgprSrdB+2], s[sgprShadowLimitB+0]    // Move shadow to real if we are within 2^32


/******************************************/
/* End setupNewTile, isPap=False             */
/******************************************/

ShadowInitStart_10: // 


	;; [unrolled: 1-line block ×3, first 2 shown]
/* initC: remove C-tile 0-0 from pool */

/* initC: remove AB-tile 0-4 from pool */
v_mov_b32 v154, 15728640                           // set out-of-bound addr
_ds_load_b64 acc[0:1], v154, offset:0              // initC
_ds_load_b64 acc[2:3], v154, offset:0              // initC
	;; [unrolled: 1-line block ×5, first 2 shown]
_ds_load_b64 acc[10:11], v154, offset:0            // initC
_ds_load_b64 acc[12:13], v154, offset:0            // initC
	;; [unrolled: 1-line block ×45, first 2 shown]
_ds_load_b64 acc[100:101], v154, offset:0          // initC
_ds_load_b64 acc[102:103], v154, offset:0          // initC
	;; [unrolled: 1-line block ×14, first 2 shown]

s_cmp_eq_u32 s[sgprLoopCounterL], 0                // at last iteration?

/* after InitC, skip to end of prefetch last iter if numIter==0 */
s_cbranch_scc0 label_NoBranch_11                   // Only branch on scc1
s_getpc_B64 s[46:47]                               // addr of next instr
s_add_i32 s48, PrefetchGlobalLastIterEnd_5, 0x4    // target branch offset
s_add_u32 s46, s46, s48                            // add target branch offset
s_addc_u32 s47, s47, 0                             // add high and carry
s_setpc_b64 s[46:47]                               // branch to PrefetchGlobalLastIterEnd_5
label_NoBranch_11:

s_waitcnt vmcnt(16)                                // lgkmcnt=-1 vmcnt=16 8wait for global read


/* local write a */

/* local write b */
_ds_store_b64 v[vgprLocalWriteAddrB], v[vgprG2LB+0:vgprG2LB+0+1] offset:0 // lwoB_0_0_0_0 = (0*LSCB)*(MT1J+PAD) + (0*LSPB) = 0


/* local write swap a */


/* (EPS=1) local write swap internal offset -> 2048 */


/* local write swap b */


/* (EPS=1) local write swap internal offset -> 2048 */


	;; [unrolled: 1-line block ×3, first 2 shown]
s_cmp_eq_u32 s[sgprLoopCounterL] 0x1               // PGR=2 but only 1 loop
s_cbranch_scc1 label_0012                          // PGR=2 but only 1 loop


_buffer_load_b64 v[vgprG2LB+0:vgprG2LB+0+1], v[vgprGlobalReadOffsetB+0], s[sgprSrdB:sgprSrdB+3], 0, offen offset:0 // G -> Reg 0_0_0_0


_buffer_load_b128 v[vgprG2LA1+0:vgprG2LA1+0+3], v[vgprGlobalReadOffsetA+0], s[sgprSrdA:sgprSrdA+3], 0, offen offset:0 // G -> Reg 0_0_0_0
_buffer_load_b128 v[vgprG2LA1+4:vgprG2LA1+4+3], v[vgprGlobalReadOffsetA+1], s[sgprSrdA:sgprSrdA+3], 0, offen offset:0 // G -> Reg 1_0_0_0
_buffer_load_b128 v[vgprG2LA1+8:vgprG2LA1+8+3], v[vgprGlobalReadOffsetA+2], s[sgprSrdA:sgprSrdA+3], 0, offen offset:0 // G -> Reg 2_0_0_0
_buffer_load_b128 v[vgprG2LA1+12:vgprG2LA1+12+3], v[vgprGlobalReadOffsetA+3], s[sgprSrdA:sgprSrdA+3], 0, offen offset:0 // G -> Reg 3_0_0_0
_buffer_load_b128 v[vgprG2LA1+16:vgprG2LA1+16+3], v[vgprGlobalReadOffsetA+4], s[sgprSrdA:sgprSrdA+3], 0, offen offset:0 // G -> Reg 4_0_0_0
_buffer_load_b128 v[vgprG2LA1+20:vgprG2LA1+20+3], v[vgprGlobalReadOffsetA+5], s[sgprSrdA:sgprSrdA+3], 0, offen offset:0 // G -> Reg 5_0_0_0
_buffer_load_b128 v[vgprG2LA1+24:vgprG2LA1+24+3], v[vgprGlobalReadOffsetA+6], s[sgprSrdA:sgprSrdA+3], 0, offen offset:0 // G -> Reg 6_0_0_0
_buffer_load_b128 v[vgprG2LA1+28:vgprG2LA1+28+3], v[vgprGlobalReadOffsetA+7], s[sgprSrdA:sgprSrdA+3], 0, offen offset:0 // G -> Reg 7_0_0_0
_buffer_load_b128 v[vgprG2LA1+32:vgprG2LA1+32+3], v[vgprGlobalReadOffsetA+8], s[sgprSrdA:sgprSrdA+3], 0, offen offset:0 // G -> Reg 0_0_1_0
_buffer_load_b128 v[vgprG2LA1+36:vgprG2LA1+36+3], v[vgprGlobalReadOffsetA+9], s[sgprSrdA:sgprSrdA+3], 0, offen offset:0 // G -> Reg 1_0_1_0
_buffer_load_b128 v[vgprG2LA1+40:vgprG2LA1+40+3], v[vgprGlobalReadOffsetA+10], s[sgprSrdA:sgprSrdA+3], 0, offen offset:0 // G -> Reg 2_0_1_0
_buffer_load_b128 v[vgprG2LA1+44:vgprG2LA1+44+3], v[vgprGlobalReadOffsetA+11], s[sgprSrdA:sgprSrdA+3], 0, offen offset:0 // G -> Reg 3_0_1_0
_buffer_load_b128 v[vgprG2LA1+48:vgprG2LA1+48+3], v[vgprGlobalReadOffsetA+12], s[sgprSrdA:sgprSrdA+3], 0, offen offset:0 // G -> Reg 4_0_1_0
_buffer_load_b128 v[vgprG2LA1+52:vgprG2LA1+52+3], v[vgprGlobalReadOffsetA+13], s[sgprSrdA:sgprSrdA+3], 0, offen offset:0 // G -> Reg 5_0_1_0
_buffer_load_b128 v[vgprG2LA1+56:vgprG2LA1+56+3], v[vgprGlobalReadOffsetA+14], s[sgprSrdA:sgprSrdA+3], 0, offen offset:0 // G -> Reg 6_0_1_0
_buffer_load_b128 v[vgprG2LA1+60:vgprG2LA1+60+3], v[vgprGlobalReadOffsetA+15], s[sgprSrdA:sgprSrdA+3], 0, offen offset:0 // G -> Reg 7_0_1_0

label_0012:                                        // 

s_waitcnt lgkmcnt(0)                               // lgkmcnt=0 vmcnt=-10prefetch wait for local write

// Skip force waitcnt0
s_barrier //


/* local read prefetch a */


	;; [unrolled: 1-line block ×3, first 2 shown]
/* local read prefetch b */

_ds_load_b64 v[vgprValuB_X0_I0+0:vgprValuB_X0_I0+0+1], v[vgprLocalReadAddrB] offset:0 // L -> Reg lro=0 swapByteOffset=0 ti=16 vIdx=0 rIdx=0 oIdx=0 buffer=0 iui=0


/* local read inc a */


	;; [unrolled: 1-line block ×3, first 2 shown]
/* local read inc b */

/* N/A, lro->4 */
/* self.localReadDoCntA 1 self.localReadDoCntB 1 */


	;; [unrolled: 1-line block ×3, first 2 shown]
/******************************************/
/* Unrolled Loop(s) - Begin               */
/******************************************/

openLoopL_13:
s_cmp_eq_u32 s[sgprLoopCounterL], 0x1              // LoopCounterL < EndCounter
s_cbranch_scc1 label_0014                          // PGR=2 but only 1 loop, toPGR1
s_cmp_le_u32 s[sgprLoopCounterL], 0x2              // LoopCounterL < EndCounter
s_cbranch_scc1 LoopEndL_evenexit_4                 // do not enter LoopL
LoopBeginL_1:


/******************************************/
/* Unrolled Loop 1/2 - Begin              */
/******************************************/

label_0015: // LoopCopy1 


/* Begin Each Unroll: Check VGPR.checkin for INT8 LW */


	;; [unrolled: 1-line block ×3, first 2 shown]
/* iter 0 (reset local read pointers iteration)  (swap and reset local write pointers iteration)  (swap local read pointers iteration)  */

s_waitcnt vmcnt(25)                                // lgkmcnt=-1 vmcnt=25global read wait for DirectToVgpr

/*  grEndMfmaIndex:4, lwStartMfmaIndex:14, lwEndMfmaIndex:15  */
/*  numMfmaForLR:11, barrierMfmaIndex:20, LocalWritePerMfma:0.165 */
/*  mfmaIndex:0  */
s_waitcnt lgkmcnt(0)                               // lgkmcnt=0 vmcnt=-1wait for prior local read local write old=0, new=0 newLW=0 newLR=0
v_mfma_f64_16x16x4_f64 a[0+0:7+0], v[vgprValuB_X0_I0+0+0+0:vgprValuB_X0_I0+0+0+0+1], v[vgprG2LA+0+0:vgprG2LA+0+0+1], a[0:7]
/*  mfmaIndex:1  */
_ds_load_b64 v[vgprValuB_X1_I0+0:vgprValuB_X1_I0+0+1], v[vgprLocalReadAddrB] offset:32 // L -> Reg lro=4 swapByteOffset=0 ti=16 vIdx=0 rIdx=0 oIdx=0 buffer=1 iui=0
/* localReadsVacancy: latencyLeft 3 */

/* global read inc B loopL */
s_add_u32 s[sgprSrdB+0], s[sgprSrdB+0], s[sgprGlobalReadIncsB+0] // gra SRD += inc(lower)
s_addc_u32  s[sgprSrdB+1], s[sgprSrdB+1], 0        // gra SRD += inc(upper)
s_sub_u32 s[sgprShadowLimitB+0], s[sgprShadowLimitB+0], s[sgprGlobalReadIncsB+0] // limit -= inc)
v_mfma_f64_16x16x4_f64 a[8+0:15+0], v[vgprValuB_X0_I0+0+0+0:vgprValuB_X0_I0+0+0+0+1], v[vgprG2LA+2+0:vgprG2LA+2+0+1], a[8:15]
/*  mfmaIndex:2  */
/* localReadsVacancy: latencyLeft 5 */
s_subb_u32 s[sgprShadowLimitB+1], s[sgprShadowLimitB+1], 0 // limit -= inc)
s_cmp_eq_u32 s[sgprShadowLimitB+1], 0              // are we within 2^32?
s_cmov_b32 s[sgprSrdB+2], s[sgprShadowLimitB+0]    // Move shadow to real if we are within 2^32
v_mfma_f64_16x16x4_f64 a[16+0:23+0], v[vgprValuB_X0_I0+0+0+0:vgprValuB_X0_I0+0+0+0+1], v[vgprG2LA+4+0:vgprG2LA+4+0+1], a[16:23]
/*  mfmaIndex:3  */
/* localReadsVacancy: latencyLeft 5 */

/* global read inc A loopL */
s_add_u32 s[sgprSrdA+0], s[sgprSrdA+0], s[sgprGlobalReadIncsA+0] // gra SRD += inc(lower)
s_addc_u32  s[sgprSrdA+1], s[sgprSrdA+1], 0        // gra SRD += inc(upper)
s_sub_u32 s[sgprShadowLimitA+0], s[sgprShadowLimitA+0], s[sgprGlobalReadIncsA+0] // limit -= inc)
v_mfma_f64_16x16x4_f64 a[24+0:31+0], v[vgprValuB_X0_I0+0+0+0:vgprValuB_X0_I0+0+0+0+1], v[vgprG2LA+6+0:vgprG2LA+6+0+1], a[24:31]
/*  mfmaIndex:4  */
/* localReadsVacancy: latencyLeft 5 */
s_subb_u32 s[sgprShadowLimitA+1], s[sgprShadowLimitA+1], 0 // limit -= inc)
s_cmp_eq_u32 s[sgprShadowLimitA+1], 0              // are we within 2^32?
s_cmov_b32 s[sgprSrdA+2], s[sgprShadowLimitA+0]    // Move shadow to real if we are within 2^32
v_mfma_f64_16x16x4_f64 a[32+0:39+0], v[vgprValuB_X0_I0+0+0+0:vgprValuB_X0_I0+0+0+0+1], v[vgprG2LA+8+0:vgprG2LA+8+0+1], a[32:39]
/*  mfmaIndex:5  */
/* localReadsVacancy: latencyLeft 5 */
v_mfma_f64_16x16x4_f64 a[40+0:47+0], v[vgprValuB_X0_I0+0+0+0:vgprValuB_X0_I0+0+0+0+1], v[vgprG2LA+10+0:vgprG2LA+10+0+1], a[40:47]
/*  mfmaIndex:6  */
/* localReadsVacancy: latencyLeft 5 */
	;; [unrolled: 3-line block ×9, first 2 shown]
v_mfma_f64_16x16x4_f64 a[104+0:111+0], v[vgprValuB_X0_I0+0+0+0:vgprValuB_X0_I0+0+0+0+1], v[vgprG2LA+26+0:vgprG2LA+26+0+1], a[104:111]
/*  mfmaIndex:14  */
s_setprio 3                                        // store optimization
/* sched write - iter 0 writesPerItem=1 */
s_waitcnt vmcnt(0)                                 // lgkmcnt=-1 vmcnt=0wait for global read before writing to local
_ds_store_b64 v[vgprLocalWriteAddrB], v[vgprG2LB+0:vgprG2LB+0+1] offset:2048 // lwoB_0_0_0_0 = (0*LSCB)*(MT1J+PAD) + (0*LSPB) = 2048
v_mfma_f64_16x16x4_f64 a[112+0:119+0], v[vgprValuB_X0_I0+0+0+0:vgprValuB_X0_I0+0+0+0+1], v[vgprG2LA+28+0:vgprG2LA+28+0+1], a[112:119]
/*  mfmaIndex:15  */
/* localReadsVacancy: latencyLeft 5 */
_buffer_load_b64 v[vgprG2LB+0:vgprG2LB+0+1], v[vgprGlobalReadOffsetB+0], s[sgprSrdB:sgprSrdB+3], 0, offen offset:0 // G -> Reg 0_0_0_0

/* local write swap offsets a */

/* (EPS=1) local write swap internal offset -> 0 */

/* local write swap offsets b */

/* (EPS=1) local write swap internal offset -> 0 */

/* local read swap offsets a */

/* local read swap offsets b */

/* local read swap internal offset -> 2048 */

/* local read init pointers a */

/* local read init pointers b */

/* localReadInitPointers */
v_mfma_f64_16x16x4_f64 a[120+0:127+0], v[vgprValuB_X0_I0+0+0+0:vgprValuB_X0_I0+0+0+0+1], v[vgprG2LA+30+0:vgprG2LA+30+0+1], a[120:127]
/* numPrefetchIter=0 */
/* dataAtIterA=-1 numReadsIterA=1 skipReadsIterA=1 readsPerIterA=8 */
/* dataAtIterB=-1 numReadsIterB=1 skipReadsIterB=1 readsPerIterB=1 */


/* iter 1 */

/*  grEndMfmaIndex:4, lwStartMfmaIndex:14, lwEndMfmaIndex:15  */
/*  numMfmaForLR:11, barrierMfmaIndex:20, LocalWritePerMfma:0.165 */
/*  mfmaIndex:16  */
s_waitcnt lgkmcnt(1)                               // lgkmcnt=0 vmcnt=-1wait for prior local read local write old=0, new=1 newLW=1 newLR=0
v_mfma_f64_16x16x4_f64 a[0+0:7+0], v[vgprValuB_X1_I0+0+0+0:vgprValuB_X1_I0+0+0+0+1], v[vgprG2LA+32+0:vgprG2LA+32+0+1], a[0:7]
_buffer_load_b128 v[vgprG2LA0+0:vgprG2LA0+0+3], v[vgprGlobalReadOffsetA+0], s[sgprSrdA:sgprSrdA+3], 0, offen offset:0 // G -> Reg 0_0_0_0
/*  mfmaIndex:17  */
v_mfma_f64_16x16x4_f64 a[8+0:15+0], v[vgprValuB_X1_I0+0+0+0:vgprValuB_X1_I0+0+0+0+1], v[vgprG2LA+34+0:vgprG2LA+34+0+1], a[8:15]
_buffer_load_b128 v[vgprG2LA0+4:vgprG2LA0+4+3], v[vgprGlobalReadOffsetA+1], s[sgprSrdA:sgprSrdA+3], 0, offen offset:0 // G -> Reg 1_0_0_0
/*  mfmaIndex:18  */
v_mfma_f64_16x16x4_f64 a[16+0:23+0], v[vgprValuB_X1_I0+0+0+0:vgprValuB_X1_I0+0+0+0+1], v[vgprG2LA+36+0:vgprG2LA+36+0+1], a[16:23]
_buffer_load_b128 v[vgprG2LA0+8:vgprG2LA0+8+3], v[vgprGlobalReadOffsetA+2], s[sgprSrdA:sgprSrdA+3], 0, offen offset:0 // G -> Reg 2_0_0_0
/*  mfmaIndex:19  */
v_mfma_f64_16x16x4_f64 a[24+0:31+0], v[vgprValuB_X1_I0+0+0+0:vgprValuB_X1_I0+0+0+0+1], v[vgprG2LA+38+0:vgprG2LA+38+0+1], a[24:31]
_buffer_load_b128 v[vgprG2LA0+12:vgprG2LA0+12+3], v[vgprGlobalReadOffsetA+3], s[sgprSrdA:sgprSrdA+3], 0, offen offset:0 // G -> Reg 3_0_0_0
s_setprio 0                                        // store optimization
/*  mfmaIndex:20  */
s_waitcnt lgkmcnt(0)                               // lgkmcnt=0 vmcnt=-13wait for local write
s_barrier
v_mfma_f64_16x16x4_f64 a[32+0:39+0], v[vgprValuB_X1_I0+0+0+0:vgprValuB_X1_I0+0+0+0+1], v[vgprG2LA+40+0:vgprG2LA+40+0+1], a[32:39]
_buffer_load_b128 v[vgprG2LA0+16:vgprG2LA0+16+3], v[vgprGlobalReadOffsetA+4], s[sgprSrdA:sgprSrdA+3], 0, offen offset:0 // G -> Reg 4_0_0_0
/*  mfmaIndex:21  */
s_setprio 3                                        // store optimization
_ds_load_b64 v[vgprValuB_X0_I0+0:vgprValuB_X0_I0+0+1], v[vgprLocalReadAddrB] offset:2048 // L -> Reg lro=0 swapByteOffset=2048 ti=16 vIdx=0 rIdx=0 oIdx=0 buffer=0 iui=0
v_mfma_f64_16x16x4_f64 a[40+0:47+0], v[vgprValuB_X1_I0+0+0+0:vgprValuB_X1_I0+0+0+0+1], v[vgprG2LA+42+0:vgprG2LA+42+0+1], a[40:47]
_buffer_load_b128 v[vgprG2LA0+20:vgprG2LA0+20+3], v[vgprGlobalReadOffsetA+5], s[sgprSrdA:sgprSrdA+3], 0, offen offset:0 // G -> Reg 5_0_0_0
/*  mfmaIndex:22  */
v_mfma_f64_16x16x4_f64 a[48+0:55+0], v[vgprValuB_X1_I0+0+0+0:vgprValuB_X1_I0+0+0+0+1], v[vgprG2LA+44+0:vgprG2LA+44+0+1], a[48:55]
_buffer_load_b128 v[vgprG2LA0+24:vgprG2LA0+24+3], v[vgprGlobalReadOffsetA+6], s[sgprSrdA:sgprSrdA+3], 0, offen offset:0 // G -> Reg 6_0_0_0
/*  mfmaIndex:23  */
v_mfma_f64_16x16x4_f64 a[56+0:63+0], v[vgprValuB_X1_I0+0+0+0:vgprValuB_X1_I0+0+0+0+1], v[vgprG2LA+46+0:vgprG2LA+46+0+1], a[56:63]
_buffer_load_b128 v[vgprG2LA0+28:vgprG2LA0+28+3], v[vgprGlobalReadOffsetA+7], s[sgprSrdA:sgprSrdA+3], 0, offen offset:0 // G -> Reg 7_0_0_0
/*  mfmaIndex:24  */
v_mfma_f64_16x16x4_f64 a[64+0:71+0], v[vgprValuB_X1_I0+0+0+0:vgprValuB_X1_I0+0+0+0+1], v[vgprG2LA+48+0:vgprG2LA+48+0+1], a[64:71]
_buffer_load_b128 v[vgprG2LA0+32:vgprG2LA0+32+3], v[vgprGlobalReadOffsetA+8], s[sgprSrdA:sgprSrdA+3], 0, offen offset:0 // G -> Reg 0_0_1_0
/*  mfmaIndex:25  */
v_mfma_f64_16x16x4_f64 a[72+0:79+0], v[vgprValuB_X1_I0+0+0+0:vgprValuB_X1_I0+0+0+0+1], v[vgprG2LA+50+0:vgprG2LA+50+0+1], a[72:79]
_buffer_load_b128 v[vgprG2LA0+36:vgprG2LA0+36+3], v[vgprGlobalReadOffsetA+9], s[sgprSrdA:sgprSrdA+3], 0, offen offset:0 // G -> Reg 1_0_1_0
/*  mfmaIndex:26  */
v_mfma_f64_16x16x4_f64 a[80+0:87+0], v[vgprValuB_X1_I0+0+0+0:vgprValuB_X1_I0+0+0+0+1], v[vgprG2LA+52+0:vgprG2LA+52+0+1], a[80:87]
_buffer_load_b128 v[vgprG2LA0+40:vgprG2LA0+40+3], v[vgprGlobalReadOffsetA+10], s[sgprSrdA:sgprSrdA+3], 0, offen offset:0 // G -> Reg 2_0_1_0
/*  mfmaIndex:27  */
v_mfma_f64_16x16x4_f64 a[88+0:95+0], v[vgprValuB_X1_I0+0+0+0:vgprValuB_X1_I0+0+0+0+1], v[vgprG2LA+54+0:vgprG2LA+54+0+1], a[88:95]
_buffer_load_b128 v[vgprG2LA0+44:vgprG2LA0+44+3], v[vgprGlobalReadOffsetA+11], s[sgprSrdA:sgprSrdA+3], 0, offen offset:0 // G -> Reg 3_0_1_0
/*  mfmaIndex:28  */
v_mfma_f64_16x16x4_f64 a[96+0:103+0], v[vgprValuB_X1_I0+0+0+0:vgprValuB_X1_I0+0+0+0+1], v[vgprG2LA+56+0:vgprG2LA+56+0+1], a[96:103]
_buffer_load_b128 v[vgprG2LA0+48:vgprG2LA0+48+3], v[vgprGlobalReadOffsetA+12], s[sgprSrdA:sgprSrdA+3], 0, offen offset:0 // G -> Reg 4_0_1_0
/*  mfmaIndex:29  */
v_mfma_f64_16x16x4_f64 a[104+0:111+0], v[vgprValuB_X1_I0+0+0+0:vgprValuB_X1_I0+0+0+0+1], v[vgprG2LA+58+0:vgprG2LA+58+0+1], a[104:111]
_buffer_load_b128 v[vgprG2LA0+52:vgprG2LA0+52+3], v[vgprGlobalReadOffsetA+13], s[sgprSrdA:sgprSrdA+3], 0, offen offset:0 // G -> Reg 5_0_1_0
/*  mfmaIndex:30  */
v_mfma_f64_16x16x4_f64 a[112+0:119+0], v[vgprValuB_X1_I0+0+0+0:vgprValuB_X1_I0+0+0+0+1], v[vgprG2LA+60+0:vgprG2LA+60+0+1], a[112:119]
_buffer_load_b128 v[vgprG2LA0+56:vgprG2LA0+56+3], v[vgprGlobalReadOffsetA+14], s[sgprSrdA:sgprSrdA+3], 0, offen offset:0 // G -> Reg 6_0_1_0
/*  mfmaIndex:31  */
v_mfma_f64_16x16x4_f64 a[120+0:127+0], v[vgprValuB_X1_I0+0+0+0:vgprValuB_X1_I0+0+0+0+1], v[vgprG2LA+62+0:vgprG2LA+62+0+1], a[120:127]
_buffer_load_b128 v[vgprG2LA0+60:vgprG2LA0+60+3], v[vgprGlobalReadOffsetA+15], s[sgprSrdA:sgprSrdA+3], 0, offen offset:0 // G -> Reg 7_0_1_0
s_setprio 0                                        // store optimization
/* numPrefetchIter=1 */
/* dataAtIterA=0 numReadsIterA=1 skipReadsIterA=1 readsPerIterA=8 */
/* dataAtIterB=0 numReadsIterB=1 skipReadsIterB=1 readsPerIterB=1 */


/******************************************/
/* Unrolled Loop - End 1/2                */
/******************************************/


/* closeLoop loopL finalLoop=0 tailLoop=0 */
s_sub_u32 s[sgprLoopCounterL], s[sgprLoopCounterL], 1 // dec counterL
s_cmp_eq_i32 s[sgprLoopCounterL], 0x2              // counterL==2
s_cbranch_scc1 LoopEndL_oddexit_3                  // exit LoopL


/******************************************/
/* Unrolled Loop 2/2 - Begin              */
/******************************************/

label_0016: // LoopCopy2 


/* Begin Each Unroll: Check VGPR.checkin for INT8 LW */


	;; [unrolled: 1-line block ×3, first 2 shown]
/* iter 0 (reset local read pointers iteration)  (swap and reset local write pointers iteration)  (swap local read pointers iteration)  */

s_waitcnt vmcnt(25)                                // lgkmcnt=-1 vmcnt=25global read wait for DirectToVgpr

/*  grEndMfmaIndex:4, lwStartMfmaIndex:14, lwEndMfmaIndex:15  */
/*  numMfmaForLR:11, barrierMfmaIndex:20, LocalWritePerMfma:0.165 */
/*  mfmaIndex:0  */
s_waitcnt lgkmcnt(0)                               // lgkmcnt=0 vmcnt=-1wait for prior local read local write old=0, new=0 newLW=0 newLR=0
v_mfma_f64_16x16x4_f64 a[0+0:7+0], v[vgprValuB_X0_I0+0+0+0:vgprValuB_X0_I0+0+0+0+1], v[vgprG2LA+64+0:vgprG2LA+64+0+1], a[0:7]
/*  mfmaIndex:1  */
_ds_load_b64 v[vgprValuB_X1_I0+0:vgprValuB_X1_I0+0+1], v[vgprLocalReadAddrB] offset:2080 // L -> Reg lro=4 swapByteOffset=2048 ti=16 vIdx=0 rIdx=0 oIdx=0 buffer=1 iui=0
/* localReadsVacancy: latencyLeft 3 */

/* global read inc B loopL */
s_add_u32 s[sgprSrdB+0], s[sgprSrdB+0], s[sgprGlobalReadIncsB+0] // gra SRD += inc(lower)
s_addc_u32  s[sgprSrdB+1], s[sgprSrdB+1], 0        // gra SRD += inc(upper)
s_sub_u32 s[sgprShadowLimitB+0], s[sgprShadowLimitB+0], s[sgprGlobalReadIncsB+0] // limit -= inc)
v_mfma_f64_16x16x4_f64 a[8+0:15+0], v[vgprValuB_X0_I0+0+0+0:vgprValuB_X0_I0+0+0+0+1], v[vgprG2LA+66+0:vgprG2LA+66+0+1], a[8:15]
/*  mfmaIndex:2  */
/* localReadsVacancy: latencyLeft 5 */
s_subb_u32 s[sgprShadowLimitB+1], s[sgprShadowLimitB+1], 0 // limit -= inc)
s_cmp_eq_u32 s[sgprShadowLimitB+1], 0              // are we within 2^32?
s_cmov_b32 s[sgprSrdB+2], s[sgprShadowLimitB+0]    // Move shadow to real if we are within 2^32
v_mfma_f64_16x16x4_f64 a[16+0:23+0], v[vgprValuB_X0_I0+0+0+0:vgprValuB_X0_I0+0+0+0+1], v[vgprG2LA+68+0:vgprG2LA+68+0+1], a[16:23]
/*  mfmaIndex:3  */
/* localReadsVacancy: latencyLeft 5 */

/* global read inc A loopL */
s_add_u32 s[sgprSrdA+0], s[sgprSrdA+0], s[sgprGlobalReadIncsA+0] // gra SRD += inc(lower)
s_addc_u32  s[sgprSrdA+1], s[sgprSrdA+1], 0        // gra SRD += inc(upper)
s_sub_u32 s[sgprShadowLimitA+0], s[sgprShadowLimitA+0], s[sgprGlobalReadIncsA+0] // limit -= inc)
v_mfma_f64_16x16x4_f64 a[24+0:31+0], v[vgprValuB_X0_I0+0+0+0:vgprValuB_X0_I0+0+0+0+1], v[vgprG2LA+70+0:vgprG2LA+70+0+1], a[24:31]
/*  mfmaIndex:4  */
/* localReadsVacancy: latencyLeft 5 */
s_subb_u32 s[sgprShadowLimitA+1], s[sgprShadowLimitA+1], 0 // limit -= inc)
s_cmp_eq_u32 s[sgprShadowLimitA+1], 0              // are we within 2^32?
s_cmov_b32 s[sgprSrdA+2], s[sgprShadowLimitA+0]    // Move shadow to real if we are within 2^32
v_mfma_f64_16x16x4_f64 a[32+0:39+0], v[vgprValuB_X0_I0+0+0+0:vgprValuB_X0_I0+0+0+0+1], v[vgprG2LA+72+0:vgprG2LA+72+0+1], a[32:39]
/*  mfmaIndex:5  */
/* localReadsVacancy: latencyLeft 5 */
v_mfma_f64_16x16x4_f64 a[40+0:47+0], v[vgprValuB_X0_I0+0+0+0:vgprValuB_X0_I0+0+0+0+1], v[vgprG2LA+74+0:vgprG2LA+74+0+1], a[40:47]
/*  mfmaIndex:6  */
/* localReadsVacancy: latencyLeft 5 */
	;; [unrolled: 3-line block ×9, first 2 shown]
v_mfma_f64_16x16x4_f64 a[104+0:111+0], v[vgprValuB_X0_I0+0+0+0:vgprValuB_X0_I0+0+0+0+1], v[vgprG2LA+90+0:vgprG2LA+90+0+1], a[104:111]
/*  mfmaIndex:14  */
s_setprio 3                                        // store optimization
/* sched write - iter 0 writesPerItem=1 */
s_waitcnt vmcnt(0)                                 // lgkmcnt=-1 vmcnt=0wait for global read before writing to local
_ds_store_b64 v[vgprLocalWriteAddrB], v[vgprG2LB+0:vgprG2LB+0+1] offset:0 // lwoB_0_0_0_0 = (0*LSCB)*(MT1J+PAD) + (0*LSPB) = 0
v_mfma_f64_16x16x4_f64 a[112+0:119+0], v[vgprValuB_X0_I0+0+0+0:vgprValuB_X0_I0+0+0+0+1], v[vgprG2LA+92+0:vgprG2LA+92+0+1], a[112:119]
/*  mfmaIndex:15  */
/* localReadsVacancy: latencyLeft 5 */
_buffer_load_b64 v[vgprG2LB+0:vgprG2LB+0+1], v[vgprGlobalReadOffsetB+0], s[sgprSrdB:sgprSrdB+3], 0, offen offset:0 // G -> Reg 0_0_0_0

/* local write swap offsets a */

/* (EPS=1) local write swap internal offset -> 2048 */

/* local write swap offsets b */

/* (EPS=1) local write swap internal offset -> 2048 */

/* local read swap offsets a */

/* local read swap offsets b */

/* local read swap internal offset -> 0 */

/* local read init pointers a */

/* local read init pointers b */

/* localReadInitPointers */
v_mfma_f64_16x16x4_f64 a[120+0:127+0], v[vgprValuB_X0_I0+0+0+0:vgprValuB_X0_I0+0+0+0+1], v[vgprG2LA+94+0:vgprG2LA+94+0+1], a[120:127]
/* numPrefetchIter=0 */
/* dataAtIterA=-1 numReadsIterA=1 skipReadsIterA=1 readsPerIterA=8 */
/* dataAtIterB=-1 numReadsIterB=1 skipReadsIterB=1 readsPerIterB=1 */


/* iter 1 */

/*  grEndMfmaIndex:4, lwStartMfmaIndex:14, lwEndMfmaIndex:15  */
/*  numMfmaForLR:11, barrierMfmaIndex:20, LocalWritePerMfma:0.165 */
/*  mfmaIndex:16  */
s_waitcnt lgkmcnt(1)                               // lgkmcnt=0 vmcnt=-1wait for prior local read local write old=0, new=1 newLW=1 newLR=0
v_mfma_f64_16x16x4_f64 a[0+0:7+0], v[vgprValuB_X1_I0+0+0+0:vgprValuB_X1_I0+0+0+0+1], v[vgprG2LA+96+0:vgprG2LA+96+0+1], a[0:7]
_buffer_load_b128 v[vgprG2LA1+0:vgprG2LA1+0+3], v[vgprGlobalReadOffsetA+0], s[sgprSrdA:sgprSrdA+3], 0, offen offset:0 // G -> Reg 0_0_0_0
/*  mfmaIndex:17  */
v_mfma_f64_16x16x4_f64 a[8+0:15+0], v[vgprValuB_X1_I0+0+0+0:vgprValuB_X1_I0+0+0+0+1], v[vgprG2LA+98+0:vgprG2LA+98+0+1], a[8:15]
_buffer_load_b128 v[vgprG2LA1+4:vgprG2LA1+4+3], v[vgprGlobalReadOffsetA+1], s[sgprSrdA:sgprSrdA+3], 0, offen offset:0 // G -> Reg 1_0_0_0
/*  mfmaIndex:18  */
v_mfma_f64_16x16x4_f64 a[16+0:23+0], v[vgprValuB_X1_I0+0+0+0:vgprValuB_X1_I0+0+0+0+1], v[vgprG2LA+100+0:vgprG2LA+100+0+1], a[16:23]
_buffer_load_b128 v[vgprG2LA1+8:vgprG2LA1+8+3], v[vgprGlobalReadOffsetA+2], s[sgprSrdA:sgprSrdA+3], 0, offen offset:0 // G -> Reg 2_0_0_0
/*  mfmaIndex:19  */
v_mfma_f64_16x16x4_f64 a[24+0:31+0], v[vgprValuB_X1_I0+0+0+0:vgprValuB_X1_I0+0+0+0+1], v[vgprG2LA+102+0:vgprG2LA+102+0+1], a[24:31]
_buffer_load_b128 v[vgprG2LA1+12:vgprG2LA1+12+3], v[vgprGlobalReadOffsetA+3], s[sgprSrdA:sgprSrdA+3], 0, offen offset:0 // G -> Reg 3_0_0_0
s_setprio 0                                        // store optimization
/*  mfmaIndex:20  */
s_waitcnt lgkmcnt(0)                               // lgkmcnt=0 vmcnt=-13wait for local write
s_barrier
v_mfma_f64_16x16x4_f64 a[32+0:39+0], v[vgprValuB_X1_I0+0+0+0:vgprValuB_X1_I0+0+0+0+1], v[vgprG2LA+104+0:vgprG2LA+104+0+1], a[32:39]
_buffer_load_b128 v[vgprG2LA1+16:vgprG2LA1+16+3], v[vgprGlobalReadOffsetA+4], s[sgprSrdA:sgprSrdA+3], 0, offen offset:0 // G -> Reg 4_0_0_0
/*  mfmaIndex:21  */
s_setprio 3                                        // store optimization
_ds_load_b64 v[vgprValuB_X0_I0+0:vgprValuB_X0_I0+0+1], v[vgprLocalReadAddrB] offset:0 // L -> Reg lro=0 swapByteOffset=0 ti=16 vIdx=0 rIdx=0 oIdx=0 buffer=0 iui=0
v_mfma_f64_16x16x4_f64 a[40+0:47+0], v[vgprValuB_X1_I0+0+0+0:vgprValuB_X1_I0+0+0+0+1], v[vgprG2LA+106+0:vgprG2LA+106+0+1], a[40:47]
_buffer_load_b128 v[vgprG2LA1+20:vgprG2LA1+20+3], v[vgprGlobalReadOffsetA+5], s[sgprSrdA:sgprSrdA+3], 0, offen offset:0 // G -> Reg 5_0_0_0
/*  mfmaIndex:22  */
v_mfma_f64_16x16x4_f64 a[48+0:55+0], v[vgprValuB_X1_I0+0+0+0:vgprValuB_X1_I0+0+0+0+1], v[vgprG2LA+108+0:vgprG2LA+108+0+1], a[48:55]
_buffer_load_b128 v[vgprG2LA1+24:vgprG2LA1+24+3], v[vgprGlobalReadOffsetA+6], s[sgprSrdA:sgprSrdA+3], 0, offen offset:0 // G -> Reg 6_0_0_0
/*  mfmaIndex:23  */
v_mfma_f64_16x16x4_f64 a[56+0:63+0], v[vgprValuB_X1_I0+0+0+0:vgprValuB_X1_I0+0+0+0+1], v[vgprG2LA+110+0:vgprG2LA+110+0+1], a[56:63]
_buffer_load_b128 v[vgprG2LA1+28:vgprG2LA1+28+3], v[vgprGlobalReadOffsetA+7], s[sgprSrdA:sgprSrdA+3], 0, offen offset:0 // G -> Reg 7_0_0_0
/*  mfmaIndex:24  */
v_mfma_f64_16x16x4_f64 a[64+0:71+0], v[vgprValuB_X1_I0+0+0+0:vgprValuB_X1_I0+0+0+0+1], v[vgprG2LA+112+0:vgprG2LA+112+0+1], a[64:71]
_buffer_load_b128 v[vgprG2LA1+32:vgprG2LA1+32+3], v[vgprGlobalReadOffsetA+8], s[sgprSrdA:sgprSrdA+3], 0, offen offset:0 // G -> Reg 0_0_1_0
/*  mfmaIndex:25  */
v_mfma_f64_16x16x4_f64 a[72+0:79+0], v[vgprValuB_X1_I0+0+0+0:vgprValuB_X1_I0+0+0+0+1], v[vgprG2LA+114+0:vgprG2LA+114+0+1], a[72:79]
_buffer_load_b128 v[vgprG2LA1+36:vgprG2LA1+36+3], v[vgprGlobalReadOffsetA+9], s[sgprSrdA:sgprSrdA+3], 0, offen offset:0 // G -> Reg 1_0_1_0
/*  mfmaIndex:26  */
v_mfma_f64_16x16x4_f64 a[80+0:87+0], v[vgprValuB_X1_I0+0+0+0:vgprValuB_X1_I0+0+0+0+1], v[vgprG2LA+116+0:vgprG2LA+116+0+1], a[80:87]
_buffer_load_b128 v[vgprG2LA1+40:vgprG2LA1+40+3], v[vgprGlobalReadOffsetA+10], s[sgprSrdA:sgprSrdA+3], 0, offen offset:0 // G -> Reg 2_0_1_0
/*  mfmaIndex:27  */
v_mfma_f64_16x16x4_f64 a[88+0:95+0], v[vgprValuB_X1_I0+0+0+0:vgprValuB_X1_I0+0+0+0+1], v[vgprG2LA+118+0:vgprG2LA+118+0+1], a[88:95]
_buffer_load_b128 v[vgprG2LA1+44:vgprG2LA1+44+3], v[vgprGlobalReadOffsetA+11], s[sgprSrdA:sgprSrdA+3], 0, offen offset:0 // G -> Reg 3_0_1_0
/*  mfmaIndex:28  */
v_mfma_f64_16x16x4_f64 a[96+0:103+0], v[vgprValuB_X1_I0+0+0+0:vgprValuB_X1_I0+0+0+0+1], v[vgprG2LA+120+0:vgprG2LA+120+0+1], a[96:103]
_buffer_load_b128 v[vgprG2LA1+48:vgprG2LA1+48+3], v[vgprGlobalReadOffsetA+12], s[sgprSrdA:sgprSrdA+3], 0, offen offset:0 // G -> Reg 4_0_1_0
/*  mfmaIndex:29  */
v_mfma_f64_16x16x4_f64 a[104+0:111+0], v[vgprValuB_X1_I0+0+0+0:vgprValuB_X1_I0+0+0+0+1], v[vgprG2LA+122+0:vgprG2LA+122+0+1], a[104:111]
_buffer_load_b128 v[vgprG2LA1+52:vgprG2LA1+52+3], v[vgprGlobalReadOffsetA+13], s[sgprSrdA:sgprSrdA+3], 0, offen offset:0 // G -> Reg 5_0_1_0
/*  mfmaIndex:30  */
v_mfma_f64_16x16x4_f64 a[112+0:119+0], v[vgprValuB_X1_I0+0+0+0:vgprValuB_X1_I0+0+0+0+1], v[vgprG2LA+124+0:vgprG2LA+124+0+1], a[112:119]
_buffer_load_b128 v[vgprG2LA1+56:vgprG2LA1+56+3], v[vgprGlobalReadOffsetA+14], s[sgprSrdA:sgprSrdA+3], 0, offen offset:0 // G -> Reg 6_0_1_0
/*  mfmaIndex:31  */
v_mfma_f64_16x16x4_f64 a[120+0:127+0], v[vgprValuB_X1_I0+0+0+0:vgprValuB_X1_I0+0+0+0+1], v[vgprG2LA+126+0:vgprG2LA+126+0+1], a[120:127]
_buffer_load_b128 v[vgprG2LA1+60:vgprG2LA1+60+3], v[vgprGlobalReadOffsetA+15], s[sgprSrdA:sgprSrdA+3], 0, offen offset:0 // G -> Reg 7_0_1_0
s_setprio 0                                        // store optimization
/* numPrefetchIter=1 */
/* dataAtIterA=0 numReadsIterA=1 skipReadsIterA=1 readsPerIterA=8 */
/* dataAtIterB=0 numReadsIterB=1 skipReadsIterB=1 readsPerIterB=1 */


/******************************************/
/* Unrolled Loop - End 2/2 (final)        */
/******************************************/


/* closeLoop loopL finalLoop=1 tailLoop=0 */
s_sub_u32 s[sgprLoopCounterL], s[sgprLoopCounterL], 1 // dec counterL
s_cmp_eq_i32 s[sgprLoopCounterL], 0x2              // counterL==2
s_cbranch_scc0 LoopBeginL_1                        // restart LoopL
LoopEndL_evenexit_4: // unroll loop eveniter exit
v_xor_b32 v[vgprLocalWriteAddrB+0], 0x800, v[vgprLocalWriteAddrB+0] // swap Red Blk

/* (EPS=1) local write swap internal offset -> 0 */

/* (EPS=1) local write swap internal offset -> 0 */
s_branch LoopEndL_2                                // exit unroll loopL (and skip second exit code)
LoopEndL_oddexit_3: // unroll loop odditer exit

/* Select high bank of LDS */
v_xor_b32 v[vgprLocalReadAddrB], 0x800, v[vgprLocalReadAddrB] // swap Red Blk
LoopEndL_2:


/* Before NLL: Check VGPR.checkin for INT8 LW */


/******************************************/
/* Ord. NoGlobalLoadLoop - Begin                                      */
/******************************************/


s_and_b32 s27, s[sgprOrigLoopCounter], 1           // test if OrigLoopCounter is Odd ?
s_cbranch_scc0 label_0017                          // Skip odd code if OrigLoopCounter is Even


/* iter 0 (reset local read pointers iteration)  (swap and reset local write pointers iteration)  (swap local read pointers iteration)  */

s_waitcnt vmcnt(25)                                // lgkmcnt=-1 vmcnt=25global read wait for DirectToVgpr

/*  grEndMfmaIndex:4, lwStartMfmaIndex:14, lwEndMfmaIndex:15  */
/*  numMfmaForLR:11, barrierMfmaIndex:20, LocalWritePerMfma:0.165 */
/*  mfmaIndex:0  */
s_waitcnt lgkmcnt(0)                               // lgkmcnt=0 vmcnt=-1wait for prior local read local write old=0, new=0 newLW=0 newLR=0
v_mfma_f64_16x16x4_f64 a[0+0:7+0], v[vgprValuB_X0_I0+0+0+0:vgprValuB_X0_I0+0+0+0+1], v[vgprG2LA+64+0:vgprG2LA+64+0+1], a[0:7]
/*  mfmaIndex:1  */
_ds_load_b64 v[vgprValuB_X1_I0+0:vgprValuB_X1_I0+0+1], v[vgprLocalReadAddrB] offset:32 // L -> Reg lro=4 swapByteOffset=0 ti=16 vIdx=0 rIdx=0 oIdx=0 buffer=1 iui=0
/* localReadsVacancy: latencyLeft 3 */

/* global read inc B loopL */
s_add_u32 s[sgprSrdB+0], s[sgprSrdB+0], s[sgprGlobalReadIncsB+0] // gra SRD += inc(lower)
s_addc_u32  s[sgprSrdB+1], s[sgprSrdB+1], 0        // gra SRD += inc(upper)
s_sub_u32 s[sgprShadowLimitB+0], s[sgprShadowLimitB+0], s[sgprGlobalReadIncsB+0] // limit -= inc)
v_mfma_f64_16x16x4_f64 a[8+0:15+0], v[vgprValuB_X0_I0+0+0+0:vgprValuB_X0_I0+0+0+0+1], v[vgprG2LA+66+0:vgprG2LA+66+0+1], a[8:15]
/*  mfmaIndex:2  */
/* localReadsVacancy: latencyLeft 5 */
s_subb_u32 s[sgprShadowLimitB+1], s[sgprShadowLimitB+1], 0 // limit -= inc)
s_cmp_eq_u32 s[sgprShadowLimitB+1], 0              // are we within 2^32?
s_cmov_b32 s[sgprSrdB+2], s[sgprShadowLimitB+0]    // Move shadow to real if we are within 2^32
v_mfma_f64_16x16x4_f64 a[16+0:23+0], v[vgprValuB_X0_I0+0+0+0:vgprValuB_X0_I0+0+0+0+1], v[vgprG2LA+68+0:vgprG2LA+68+0+1], a[16:23]
/*  mfmaIndex:3  */
/* localReadsVacancy: latencyLeft 5 */

/* global read inc A loopL */
s_add_u32 s[sgprSrdA+0], s[sgprSrdA+0], s[sgprGlobalReadIncsA+0] // gra SRD += inc(lower)
s_addc_u32  s[sgprSrdA+1], s[sgprSrdA+1], 0        // gra SRD += inc(upper)
s_sub_u32 s[sgprShadowLimitA+0], s[sgprShadowLimitA+0], s[sgprGlobalReadIncsA+0] // limit -= inc)
v_mfma_f64_16x16x4_f64 a[24+0:31+0], v[vgprValuB_X0_I0+0+0+0:vgprValuB_X0_I0+0+0+0+1], v[vgprG2LA+70+0:vgprG2LA+70+0+1], a[24:31]
/*  mfmaIndex:4  */
/* localReadsVacancy: latencyLeft 5 */
s_subb_u32 s[sgprShadowLimitA+1], s[sgprShadowLimitA+1], 0 // limit -= inc)
s_cmp_eq_u32 s[sgprShadowLimitA+1], 0              // are we within 2^32?
s_cmov_b32 s[sgprSrdA+2], s[sgprShadowLimitA+0]    // Move shadow to real if we are within 2^32
v_mfma_f64_16x16x4_f64 a[32+0:39+0], v[vgprValuB_X0_I0+0+0+0:vgprValuB_X0_I0+0+0+0+1], v[vgprG2LA+72+0:vgprG2LA+72+0+1], a[32:39]
/*  mfmaIndex:5  */
/* localReadsVacancy: latencyLeft 5 */
v_mfma_f64_16x16x4_f64 a[40+0:47+0], v[vgprValuB_X0_I0+0+0+0:vgprValuB_X0_I0+0+0+0+1], v[vgprG2LA+74+0:vgprG2LA+74+0+1], a[40:47]
/*  mfmaIndex:6  */
/* localReadsVacancy: latencyLeft 5 */
	;; [unrolled: 3-line block ×9, first 2 shown]
v_mfma_f64_16x16x4_f64 a[104+0:111+0], v[vgprValuB_X0_I0+0+0+0:vgprValuB_X0_I0+0+0+0+1], v[vgprG2LA+90+0:vgprG2LA+90+0+1], a[104:111]
/*  mfmaIndex:14  */
s_setprio 3                                        // store optimization
/* sched write - iter 0 writesPerItem=1 */
s_waitcnt vmcnt(0)                                 // lgkmcnt=-1 vmcnt=0wait for global read before writing to local
_ds_store_b64 v[vgprLocalWriteAddrB], v[vgprG2LB+0:vgprG2LB+0+1] offset:0 // lwoB_0_0_0_0 = (0*LSCB)*(MT1J+PAD) + (0*LSPB) = 0
v_mfma_f64_16x16x4_f64 a[112+0:119+0], v[vgprValuB_X0_I0+0+0+0:vgprValuB_X0_I0+0+0+0+1], v[vgprG2LA+92+0:vgprG2LA+92+0+1], a[112:119]
/*  mfmaIndex:15  */
/* localReadsVacancy: latencyLeft 5 */

/* local write swap offsets a */

/* (EPS=1) local write swap internal offset -> 2048 */

/* local write swap offsets b */

/* (EPS=1) local write swap internal offset -> 2048 */

/* local read swap offsets a */

/* local read swap offsets b */
v_xor_b32 v[vgprLocalReadAddrB], 0x800, v[vgprLocalReadAddrB] // swap Red Blk

/* local read init pointers a */

/* local read init pointers b */

/* localReadInitPointers */
v_mfma_f64_16x16x4_f64 a[120+0:127+0], v[vgprValuB_X0_I0+0+0+0:vgprValuB_X0_I0+0+0+0+1], v[vgprG2LA+94+0:vgprG2LA+94+0+1], a[120:127]
/* numPrefetchIter=0 */
/* dataAtIterA=-1 numReadsIterA=1 skipReadsIterA=1 readsPerIterA=8 */
/* dataAtIterB=-1 numReadsIterB=1 skipReadsIterB=1 readsPerIterB=1 */


/* iter 1 */

/*  grEndMfmaIndex:4, lwStartMfmaIndex:14, lwEndMfmaIndex:15  */
/*  numMfmaForLR:11, barrierMfmaIndex:20, LocalWritePerMfma:0.165 */
/*  mfmaIndex:16  */
s_waitcnt lgkmcnt(1)                               // lgkmcnt=0 vmcnt=-1wait for prior local read local write old=0, new=1 newLW=1 newLR=0
v_mfma_f64_16x16x4_f64 a[0+0:7+0], v[vgprValuB_X1_I0+0+0+0:vgprValuB_X1_I0+0+0+0+1], v[vgprG2LA+96+0:vgprG2LA+96+0+1], a[0:7]
/*  mfmaIndex:17  */
v_mfma_f64_16x16x4_f64 a[8+0:15+0], v[vgprValuB_X1_I0+0+0+0:vgprValuB_X1_I0+0+0+0+1], v[vgprG2LA+98+0:vgprG2LA+98+0+1], a[8:15]
/*  mfmaIndex:18  */
	;; [unrolled: 2-line block ×3, first 2 shown]
v_mfma_f64_16x16x4_f64 a[24+0:31+0], v[vgprValuB_X1_I0+0+0+0:vgprValuB_X1_I0+0+0+0+1], v[vgprG2LA+102+0:vgprG2LA+102+0+1], a[24:31]
s_setprio 0                                        // store optimization
/*  mfmaIndex:20  */
s_waitcnt lgkmcnt(0)                               // lgkmcnt=0 vmcnt=-13wait for local write
// Skip force waitcnt0
s_barrier //
v_mfma_f64_16x16x4_f64 a[32+0:39+0], v[vgprValuB_X1_I0+0+0+0:vgprValuB_X1_I0+0+0+0+1], v[vgprG2LA+104+0:vgprG2LA+104+0+1], a[32:39]
/*  mfmaIndex:21  */
s_setprio 3                                        // store optimization
_ds_load_b64 v[vgprValuB_X0_I0+0:vgprValuB_X0_I0+0+1], v[vgprLocalReadAddrB] offset:0 // L -> Reg lro=0 swapByteOffset=0 ti=16 vIdx=0 rIdx=0 oIdx=0 buffer=0 iui=0
v_mfma_f64_16x16x4_f64 a[40+0:47+0], v[vgprValuB_X1_I0+0+0+0:vgprValuB_X1_I0+0+0+0+1], v[vgprG2LA+106+0:vgprG2LA+106+0+1], a[40:47]
/*  mfmaIndex:22  */
v_mfma_f64_16x16x4_f64 a[48+0:55+0], v[vgprValuB_X1_I0+0+0+0:vgprValuB_X1_I0+0+0+0+1], v[vgprG2LA+108+0:vgprG2LA+108+0+1], a[48:55]
/*  mfmaIndex:23  */
	;; [unrolled: 2-line block ×10, first 2 shown]
v_mfma_f64_16x16x4_f64 a[120+0:127+0], v[vgprValuB_X1_I0+0+0+0:vgprValuB_X1_I0+0+0+0+1], v[vgprG2LA+126+0:vgprG2LA+126+0+1], a[120:127]
s_setprio 0                                        // store optimization
/* numPrefetchIter=1 */
/* dataAtIterA=0 numReadsIterA=1 skipReadsIterA=1 readsPerIterA=8 */
/* dataAtIterB=0 numReadsIterB=1 skipReadsIterB=1 readsPerIterB=1 */

s_branch label_0018                                // Skip even code
label_0017: // EvenStartNoGlobalLoadLoopOrd 


/* iter 0 (reset local read pointers iteration)  (swap and reset local write pointers iteration)  (swap local read pointers iteration)  */

s_waitcnt vmcnt(25)                                // lgkmcnt=-1 vmcnt=25global read wait for DirectToVgpr

/*  grEndMfmaIndex:4, lwStartMfmaIndex:14, lwEndMfmaIndex:15  */
/*  numMfmaForLR:11, barrierMfmaIndex:20, LocalWritePerMfma:0.165 */
/*  mfmaIndex:0  */
s_waitcnt lgkmcnt(0)                               // lgkmcnt=0 vmcnt=-1wait for prior local read local write old=0, new=0 newLW=0 newLR=0
v_mfma_f64_16x16x4_f64 a[0+0:7+0], v[vgprValuB_X0_I0+0+0+0:vgprValuB_X0_I0+0+0+0+1], v[vgprG2LA+0+0:vgprG2LA+0+0+1], a[0:7]
/*  mfmaIndex:1  */
_ds_load_b64 v[vgprValuB_X1_I0+0:vgprValuB_X1_I0+0+1], v[vgprLocalReadAddrB] offset:32 // L -> Reg lro=4 swapByteOffset=0 ti=16 vIdx=0 rIdx=0 oIdx=0 buffer=1 iui=0
/* localReadsVacancy: latencyLeft 3 */

/* global read inc B loopL */
s_add_u32 s[sgprSrdB+0], s[sgprSrdB+0], s[sgprGlobalReadIncsB+0] // gra SRD += inc(lower)
s_addc_u32  s[sgprSrdB+1], s[sgprSrdB+1], 0        // gra SRD += inc(upper)
s_sub_u32 s[sgprShadowLimitB+0], s[sgprShadowLimitB+0], s[sgprGlobalReadIncsB+0] // limit -= inc)
v_mfma_f64_16x16x4_f64 a[8+0:15+0], v[vgprValuB_X0_I0+0+0+0:vgprValuB_X0_I0+0+0+0+1], v[vgprG2LA+2+0:vgprG2LA+2+0+1], a[8:15]
/*  mfmaIndex:2  */
/* localReadsVacancy: latencyLeft 5 */
s_subb_u32 s[sgprShadowLimitB+1], s[sgprShadowLimitB+1], 0 // limit -= inc)
s_cmp_eq_u32 s[sgprShadowLimitB+1], 0              // are we within 2^32?
s_cmov_b32 s[sgprSrdB+2], s[sgprShadowLimitB+0]    // Move shadow to real if we are within 2^32
v_mfma_f64_16x16x4_f64 a[16+0:23+0], v[vgprValuB_X0_I0+0+0+0:vgprValuB_X0_I0+0+0+0+1], v[vgprG2LA+4+0:vgprG2LA+4+0+1], a[16:23]
/*  mfmaIndex:3  */
/* localReadsVacancy: latencyLeft 5 */

/* global read inc A loopL */
s_add_u32 s[sgprSrdA+0], s[sgprSrdA+0], s[sgprGlobalReadIncsA+0] // gra SRD += inc(lower)
s_addc_u32  s[sgprSrdA+1], s[sgprSrdA+1], 0        // gra SRD += inc(upper)
s_sub_u32 s[sgprShadowLimitA+0], s[sgprShadowLimitA+0], s[sgprGlobalReadIncsA+0] // limit -= inc)
v_mfma_f64_16x16x4_f64 a[24+0:31+0], v[vgprValuB_X0_I0+0+0+0:vgprValuB_X0_I0+0+0+0+1], v[vgprG2LA+6+0:vgprG2LA+6+0+1], a[24:31]
/*  mfmaIndex:4  */
/* localReadsVacancy: latencyLeft 5 */
s_subb_u32 s[sgprShadowLimitA+1], s[sgprShadowLimitA+1], 0 // limit -= inc)
s_cmp_eq_u32 s[sgprShadowLimitA+1], 0              // are we within 2^32?
s_cmov_b32 s[sgprSrdA+2], s[sgprShadowLimitA+0]    // Move shadow to real if we are within 2^32
v_mfma_f64_16x16x4_f64 a[32+0:39+0], v[vgprValuB_X0_I0+0+0+0:vgprValuB_X0_I0+0+0+0+1], v[vgprG2LA+8+0:vgprG2LA+8+0+1], a[32:39]
/*  mfmaIndex:5  */
/* localReadsVacancy: latencyLeft 5 */
v_mfma_f64_16x16x4_f64 a[40+0:47+0], v[vgprValuB_X0_I0+0+0+0:vgprValuB_X0_I0+0+0+0+1], v[vgprG2LA+10+0:vgprG2LA+10+0+1], a[40:47]
/*  mfmaIndex:6  */
/* localReadsVacancy: latencyLeft 5 */
	;; [unrolled: 3-line block ×9, first 2 shown]
v_mfma_f64_16x16x4_f64 a[104+0:111+0], v[vgprValuB_X0_I0+0+0+0:vgprValuB_X0_I0+0+0+0+1], v[vgprG2LA+26+0:vgprG2LA+26+0+1], a[104:111]
/*  mfmaIndex:14  */
s_setprio 3                                        // store optimization
/* sched write - iter 0 writesPerItem=1 */
s_waitcnt vmcnt(0)                                 // lgkmcnt=-1 vmcnt=0wait for global read before writing to local
_ds_store_b64 v[vgprLocalWriteAddrB], v[vgprG2LB+0:vgprG2LB+0+1] offset:0 // lwoB_0_0_0_0 = (0*LSCB)*(MT1J+PAD) + (0*LSPB) = 0
v_mfma_f64_16x16x4_f64 a[112+0:119+0], v[vgprValuB_X0_I0+0+0+0:vgprValuB_X0_I0+0+0+0+1], v[vgprG2LA+28+0:vgprG2LA+28+0+1], a[112:119]
/*  mfmaIndex:15  */
/* localReadsVacancy: latencyLeft 5 */

/* local write swap offsets a */

/* (EPS=1) local write swap internal offset -> 2048 */

/* local write swap offsets b */

/* (EPS=1) local write swap internal offset -> 2048 */

/* local read swap offsets a */

/* local read swap offsets b */
v_xor_b32 v[vgprLocalReadAddrB], 0x800, v[vgprLocalReadAddrB] // swap Red Blk

/* local read init pointers a */

/* local read init pointers b */

/* localReadInitPointers */
v_mfma_f64_16x16x4_f64 a[120+0:127+0], v[vgprValuB_X0_I0+0+0+0:vgprValuB_X0_I0+0+0+0+1], v[vgprG2LA+30+0:vgprG2LA+30+0+1], a[120:127]
/* numPrefetchIter=0 */
/* dataAtIterA=-1 numReadsIterA=1 skipReadsIterA=1 readsPerIterA=8 */
/* dataAtIterB=-1 numReadsIterB=1 skipReadsIterB=1 readsPerIterB=1 */


/* iter 1 */

/*  grEndMfmaIndex:4, lwStartMfmaIndex:14, lwEndMfmaIndex:15  */
/*  numMfmaForLR:11, barrierMfmaIndex:20, LocalWritePerMfma:0.165 */
/*  mfmaIndex:16  */
s_waitcnt lgkmcnt(1)                               // lgkmcnt=0 vmcnt=-1wait for prior local read local write old=0, new=1 newLW=1 newLR=0
v_mfma_f64_16x16x4_f64 a[0+0:7+0], v[vgprValuB_X1_I0+0+0+0:vgprValuB_X1_I0+0+0+0+1], v[vgprG2LA+32+0:vgprG2LA+32+0+1], a[0:7]
/*  mfmaIndex:17  */
v_mfma_f64_16x16x4_f64 a[8+0:15+0], v[vgprValuB_X1_I0+0+0+0:vgprValuB_X1_I0+0+0+0+1], v[vgprG2LA+34+0:vgprG2LA+34+0+1], a[8:15]
/*  mfmaIndex:18  */
	;; [unrolled: 2-line block ×3, first 2 shown]
v_mfma_f64_16x16x4_f64 a[24+0:31+0], v[vgprValuB_X1_I0+0+0+0:vgprValuB_X1_I0+0+0+0+1], v[vgprG2LA+38+0:vgprG2LA+38+0+1], a[24:31]
s_setprio 0                                        // store optimization
/*  mfmaIndex:20  */
s_waitcnt lgkmcnt(0)                               // lgkmcnt=0 vmcnt=-13wait for local write
// Skip force waitcnt0
s_barrier //
v_mfma_f64_16x16x4_f64 a[32+0:39+0], v[vgprValuB_X1_I0+0+0+0:vgprValuB_X1_I0+0+0+0+1], v[vgprG2LA+40+0:vgprG2LA+40+0+1], a[32:39]
/*  mfmaIndex:21  */
s_setprio 3                                        // store optimization
_ds_load_b64 v[vgprValuB_X0_I0+0:vgprValuB_X0_I0+0+1], v[vgprLocalReadAddrB] offset:0 // L -> Reg lro=0 swapByteOffset=0 ti=16 vIdx=0 rIdx=0 oIdx=0 buffer=0 iui=0
v_mfma_f64_16x16x4_f64 a[40+0:47+0], v[vgprValuB_X1_I0+0+0+0:vgprValuB_X1_I0+0+0+0+1], v[vgprG2LA+42+0:vgprG2LA+42+0+1], a[40:47]
/*  mfmaIndex:22  */
v_mfma_f64_16x16x4_f64 a[48+0:55+0], v[vgprValuB_X1_I0+0+0+0:vgprValuB_X1_I0+0+0+0+1], v[vgprG2LA+44+0:vgprG2LA+44+0+1], a[48:55]
/*  mfmaIndex:23  */
	;; [unrolled: 2-line block ×10, first 2 shown]
v_mfma_f64_16x16x4_f64 a[120+0:127+0], v[vgprValuB_X1_I0+0+0+0:vgprValuB_X1_I0+0+0+0+1], v[vgprG2LA+62+0:vgprG2LA+62+0+1], a[120:127]
s_setprio 0                                        // store optimization
/* numPrefetchIter=1 */
/* dataAtIterA=0 numReadsIterA=1 skipReadsIterA=1 readsPerIterA=8 */
/* dataAtIterB=0 numReadsIterB=1 skipReadsIterB=1 readsPerIterB=1 */

label_0018: // EvenEndNoGlobalLoadLoopOrd 

label_0014:


/******************************************/
/* Ord. NoLoadLoop - Begin                                      */
/******************************************/


	;; [unrolled: 1-line block ×3, first 2 shown]
/* Tail Loop in NoLoadLoop */
//numIterL = (((sizeL % LOCAL_DEPTHU) + LOCAL_SPLITU - 1) / LOCAL_SPLITU)
s_and_b32 s[sgprLoopCounterL], 7, s[sgprSizesSum+0] // s[sgprLoopCounterL] = s[sgprSizesSum+0] % 8
s_cmp_eq_u32 s[sgprLoopCounterL], 0x0              // numIterL == 0
s_cmov_b32 s[sgprLoopCounterL], 0x8                // Convert 0 to DepthU in tail loop NLL case

s_and_b32 s27, s[sgprOrigLoopCounter], 1           // test if OrigLoopCounter is Odd ?
s_cbranch_scc0 label_0019                          // Skip odd code if OrigLoopCounter is Even


	;; [unrolled: 1-line block ×3, first 2 shown]
/* iter 0 (last unrolled loop) */

s_waitcnt vmcnt(8)                                 // lgkmcnt=-1 vmcnt=8global read wait for DirectToVgpr

/*  grEndMfmaIndex:0, lwStartMfmaIndex:15, lwEndMfmaIndex:15  */
/*  numMfmaForLR:11, barrierMfmaIndex:20, LocalWritePerMfma:0.165 */
/*  mfmaIndex:0  */
s_waitcnt lgkmcnt(0)                               // lgkmcnt=0 vmcnt=-1wait for prior local read local write old=0, new=0 newLW=0 newLR=0

/* tail loop mfma iter 0: numReadsIterCoalescedA=1, numReadsIterCoalescedB=1 */
v_and_b32 v154, 63, v[vgprSerial]                  // v154 = v[vgprSerial] % 64
v_lshrrev_b32 v154, 4, v154                        // v154 = v154 / 16
                                                   // v154 = v154 * 1 (multiplier is 1, do nothing)
v_cmp_ge_i32 s[46:47], v154, s[sgprLoopCounterL]   // check K index >= Size L
v_cndmask_b32 v[vgprValuB_X0_I0+0+0+0+0], v[vgprValuB_X0_I0+0+0+0+0], 0x0, s[46:47] // set 0 if K_idx >= sizeL
v_cndmask_b32 v[vgprValuB_X0_I0+0+0+0+1], v[vgprValuB_X0_I0+0+0+0+1], 0x0, s[46:47] // set 0 if K_idx >= sizeL
s_nop 1
v_mfma_f64_16x16x4_f64 a[0+0:7+0], v[vgprValuB_X0_I0+0+0+0:vgprValuB_X0_I0+0+0+0+1], v[vgprG2LA+0+0:vgprG2LA+0+0+1], a[0:7]
/*  mfmaIndex:1  */
_ds_load_b64 v[vgprValuB_X1_I0+0:vgprValuB_X1_I0+0+1], v[vgprLocalReadAddrB] offset:32 // L -> Reg lro=4 swapByteOffset=0 ti=16 vIdx=0 rIdx=0 oIdx=0 buffer=1 iui=0
/* localReadsVacancy: latencyLeft 3 */
v_mfma_f64_16x16x4_f64 a[8+0:15+0], v[vgprValuB_X0_I0+0+0+0:vgprValuB_X0_I0+0+0+0+1], v[vgprG2LA+2+0:vgprG2LA+2+0+1], a[8:15]
/*  mfmaIndex:2  */
/* localReadsVacancy: latencyLeft 5 */
v_mfma_f64_16x16x4_f64 a[16+0:23+0], v[vgprValuB_X0_I0+0+0+0:vgprValuB_X0_I0+0+0+0+1], v[vgprG2LA+4+0:vgprG2LA+4+0+1], a[16:23]
/*  mfmaIndex:3  */
	;; [unrolled: 3-line block ×14, first 2 shown]
/* localReadsVacancy: latencyLeft 5 */
s_setprio 3                                        // store optimization
v_mfma_f64_16x16x4_f64 a[120+0:127+0], v[vgprValuB_X0_I0+0+0+0:vgprValuB_X0_I0+0+0+0+1], v[vgprG2LA+30+0:vgprG2LA+30+0+1], a[120:127]
/* numPrefetchIter=0 */
/* dataAtIterA=-1 numReadsIterA=1 skipReadsIterA=1 readsPerIterA=8 */
/* dataAtIterB=-1 numReadsIterB=1 skipReadsIterB=1 readsPerIterB=1 */


/* closeLoop loopL finalLoop=0 tailLoop=1 */
s_sub_i32 s[sgprLoopCounterL], s[sgprLoopCounterL], 0x4 // dec counterL (tailLoop)
s_add_u32 s[sgprOrigLoopCounter], s[sgprOrigLoopCounter], 0x4 // inc counterL
s_cmp_le_i32 s[sgprLoopCounterL], 0x0              // counterL<=0
s_cbranch_scc1 TailLoopEndL_oddexit_20             // exit LoopL


/* iter 1 (last unrolled loop) */

s_waitcnt vmcnt(0)                                 // lgkmcnt=-1 vmcnt=0global read wait for DirectToVgpr

/*  grEndMfmaIndex:0, lwStartMfmaIndex:15, lwEndMfmaIndex:15  */
/*  numMfmaForLR:11, barrierMfmaIndex:20, LocalWritePerMfma:0.165 */
/*  mfmaIndex:16  */
s_waitcnt lgkmcnt(0)                               // lgkmcnt=0 vmcnt=-1wait for prior local read local write old=0, new=0 newLW=0 newLR=0

/* tail loop mfma iter 1: numReadsIterCoalescedA=1, numReadsIterCoalescedB=1 */
v_and_b32 v154, 63, v[vgprSerial]                  // v154 = v[vgprSerial] % 64
v_lshrrev_b32 v154, 4, v154                        // v154 = v154 / 16
                                                   // v154 = v154 * 1 (multiplier is 1, do nothing)
v_cmp_ge_i32 s[46:47], v154, s[sgprLoopCounterL]   // check K index >= Size L
v_cndmask_b32 v[vgprValuB_X1_I0+0+0+0+0], v[vgprValuB_X1_I0+0+0+0+0], 0x0, s[46:47] // set 0 if K_idx >= sizeL
v_cndmask_b32 v[vgprValuB_X1_I0+0+0+0+1], v[vgprValuB_X1_I0+0+0+0+1], 0x0, s[46:47] // set 0 if K_idx >= sizeL
s_nop 1
v_mfma_f64_16x16x4_f64 a[0+0:7+0], v[vgprValuB_X1_I0+0+0+0:vgprValuB_X1_I0+0+0+0+1], v[vgprG2LA+32+0:vgprG2LA+32+0+1], a[0:7]
/*  mfmaIndex:17  */
v_mfma_f64_16x16x4_f64 a[8+0:15+0], v[vgprValuB_X1_I0+0+0+0:vgprValuB_X1_I0+0+0+0+1], v[vgprG2LA+34+0:vgprG2LA+34+0+1], a[8:15]
/*  mfmaIndex:18  */
	;; [unrolled: 2-line block ×3, first 2 shown]
v_mfma_f64_16x16x4_f64 a[24+0:31+0], v[vgprValuB_X1_I0+0+0+0:vgprValuB_X1_I0+0+0+0+1], v[vgprG2LA+38+0:vgprG2LA+38+0+1], a[24:31]
s_setprio 0                                        // store optimization
/*  mfmaIndex:20  */
v_mfma_f64_16x16x4_f64 a[32+0:39+0], v[vgprValuB_X1_I0+0+0+0:vgprValuB_X1_I0+0+0+0+1], v[vgprG2LA+40+0:vgprG2LA+40+0+1], a[32:39]
/*  mfmaIndex:21  */
s_setprio 3                                        // store optimization
v_mfma_f64_16x16x4_f64 a[40+0:47+0], v[vgprValuB_X1_I0+0+0+0:vgprValuB_X1_I0+0+0+0+1], v[vgprG2LA+42+0:vgprG2LA+42+0+1], a[40:47]
/*  mfmaIndex:22  */
v_mfma_f64_16x16x4_f64 a[48+0:55+0], v[vgprValuB_X1_I0+0+0+0:vgprValuB_X1_I0+0+0+0+1], v[vgprG2LA+44+0:vgprG2LA+44+0+1], a[48:55]
/*  mfmaIndex:23  */
	;; [unrolled: 2-line block ×10, first 2 shown]
v_mfma_f64_16x16x4_f64 a[120+0:127+0], v[vgprValuB_X1_I0+0+0+0:vgprValuB_X1_I0+0+0+0+1], v[vgprG2LA+62+0:vgprG2LA+62+0+1], a[120:127]
/* numPrefetchIter=0 */
/* dataAtIterA=0 numReadsIterA=1 skipReadsIterA=0 readsPerIterA=8 */
/* dataAtIterB=0 numReadsIterB=1 skipReadsIterB=0 readsPerIterB=1 */

TailLoopEndL_oddexit_20:

s_branch label_0022                                // Skip even code
label_0019: // EvenStartNoLoadLoopOrd 


	;; [unrolled: 1-line block ×3, first 2 shown]
/* iter 0 (last unrolled loop) */

s_waitcnt vmcnt(8)                                 // lgkmcnt=-1 vmcnt=8global read wait for DirectToVgpr

/*  grEndMfmaIndex:0, lwStartMfmaIndex:15, lwEndMfmaIndex:15  */
/*  numMfmaForLR:11, barrierMfmaIndex:20, LocalWritePerMfma:0.165 */
/*  mfmaIndex:0  */
s_waitcnt lgkmcnt(0)                               // lgkmcnt=0 vmcnt=-1wait for prior local read local write old=0, new=0 newLW=0 newLR=0

/* tail loop mfma iter 0: numReadsIterCoalescedA=1, numReadsIterCoalescedB=1 */
v_and_b32 v154, 63, v[vgprSerial]                  // v154 = v[vgprSerial] % 64
v_lshrrev_b32 v154, 4, v154                        // v154 = v154 / 16
                                                   // v154 = v154 * 1 (multiplier is 1, do nothing)
v_cmp_ge_i32 s[46:47], v154, s[sgprLoopCounterL]   // check K index >= Size L
v_cndmask_b32 v[vgprValuB_X0_I0+0+0+0+0], v[vgprValuB_X0_I0+0+0+0+0], 0x0, s[46:47] // set 0 if K_idx >= sizeL
v_cndmask_b32 v[vgprValuB_X0_I0+0+0+0+1], v[vgprValuB_X0_I0+0+0+0+1], 0x0, s[46:47] // set 0 if K_idx >= sizeL
s_nop 1
v_mfma_f64_16x16x4_f64 a[0+0:7+0], v[vgprValuB_X0_I0+0+0+0:vgprValuB_X0_I0+0+0+0+1], v[vgprG2LA+64+0:vgprG2LA+64+0+1], a[0:7]
/*  mfmaIndex:1  */
_ds_load_b64 v[vgprValuB_X1_I0+0:vgprValuB_X1_I0+0+1], v[vgprLocalReadAddrB] offset:32 // L -> Reg lro=4 swapByteOffset=0 ti=16 vIdx=0 rIdx=0 oIdx=0 buffer=1 iui=0
/* localReadsVacancy: latencyLeft 3 */
v_mfma_f64_16x16x4_f64 a[8+0:15+0], v[vgprValuB_X0_I0+0+0+0:vgprValuB_X0_I0+0+0+0+1], v[vgprG2LA+66+0:vgprG2LA+66+0+1], a[8:15]
/*  mfmaIndex:2  */
/* localReadsVacancy: latencyLeft 5 */
v_mfma_f64_16x16x4_f64 a[16+0:23+0], v[vgprValuB_X0_I0+0+0+0:vgprValuB_X0_I0+0+0+0+1], v[vgprG2LA+68+0:vgprG2LA+68+0+1], a[16:23]
/*  mfmaIndex:3  */
	;; [unrolled: 3-line block ×14, first 2 shown]
/* localReadsVacancy: latencyLeft 5 */
s_setprio 3                                        // store optimization
v_mfma_f64_16x16x4_f64 a[120+0:127+0], v[vgprValuB_X0_I0+0+0+0:vgprValuB_X0_I0+0+0+0+1], v[vgprG2LA+94+0:vgprG2LA+94+0+1], a[120:127]
/* numPrefetchIter=0 */
/* dataAtIterA=-1 numReadsIterA=1 skipReadsIterA=1 readsPerIterA=8 */
/* dataAtIterB=-1 numReadsIterB=1 skipReadsIterB=1 readsPerIterB=1 */


/* closeLoop loopL finalLoop=0 tailLoop=1 */
s_sub_i32 s[sgprLoopCounterL], s[sgprLoopCounterL], 0x4 // dec counterL (tailLoop)
s_add_u32 s[sgprOrigLoopCounter], s[sgprOrigLoopCounter], 0x4 // inc counterL
s_cmp_le_i32 s[sgprLoopCounterL], 0x0              // counterL<=0
s_cbranch_scc1 TailLoopEndL_7                      // exit LoopL


/* iter 1 (last unrolled loop) */

s_waitcnt vmcnt(0)                                 // lgkmcnt=-1 vmcnt=0global read wait for DirectToVgpr

/*  grEndMfmaIndex:0, lwStartMfmaIndex:15, lwEndMfmaIndex:15  */
/*  numMfmaForLR:11, barrierMfmaIndex:20, LocalWritePerMfma:0.165 */
/*  mfmaIndex:16  */
s_waitcnt lgkmcnt(0)                               // lgkmcnt=0 vmcnt=-1wait for prior local read local write old=0, new=0 newLW=0 newLR=0

/* tail loop mfma iter 1: numReadsIterCoalescedA=1, numReadsIterCoalescedB=1 */
v_and_b32 v154, 63, v[vgprSerial]                  // v154 = v[vgprSerial] % 64
v_lshrrev_b32 v154, 4, v154                        // v154 = v154 / 16
                                                   // v154 = v154 * 1 (multiplier is 1, do nothing)
v_cmp_ge_i32 s[46:47], v154, s[sgprLoopCounterL]   // check K index >= Size L
v_cndmask_b32 v[vgprValuB_X1_I0+0+0+0+0], v[vgprValuB_X1_I0+0+0+0+0], 0x0, s[46:47] // set 0 if K_idx >= sizeL
v_cndmask_b32 v[vgprValuB_X1_I0+0+0+0+1], v[vgprValuB_X1_I0+0+0+0+1], 0x0, s[46:47] // set 0 if K_idx >= sizeL
s_nop 1
v_mfma_f64_16x16x4_f64 a[0+0:7+0], v[vgprValuB_X1_I0+0+0+0:vgprValuB_X1_I0+0+0+0+1], v[vgprG2LA+96+0:vgprG2LA+96+0+1], a[0:7]
/*  mfmaIndex:17  */
v_mfma_f64_16x16x4_f64 a[8+0:15+0], v[vgprValuB_X1_I0+0+0+0:vgprValuB_X1_I0+0+0+0+1], v[vgprG2LA+98+0:vgprG2LA+98+0+1], a[8:15]
/*  mfmaIndex:18  */
	;; [unrolled: 2-line block ×3, first 2 shown]
v_mfma_f64_16x16x4_f64 a[24+0:31+0], v[vgprValuB_X1_I0+0+0+0:vgprValuB_X1_I0+0+0+0+1], v[vgprG2LA+102+0:vgprG2LA+102+0+1], a[24:31]
s_setprio 0                                        // store optimization
/*  mfmaIndex:20  */
v_mfma_f64_16x16x4_f64 a[32+0:39+0], v[vgprValuB_X1_I0+0+0+0:vgprValuB_X1_I0+0+0+0+1], v[vgprG2LA+104+0:vgprG2LA+104+0+1], a[32:39]
/*  mfmaIndex:21  */
s_setprio 3                                        // store optimization
v_mfma_f64_16x16x4_f64 a[40+0:47+0], v[vgprValuB_X1_I0+0+0+0:vgprValuB_X1_I0+0+0+0+1], v[vgprG2LA+106+0:vgprG2LA+106+0+1], a[40:47]
/*  mfmaIndex:22  */
v_mfma_f64_16x16x4_f64 a[48+0:55+0], v[vgprValuB_X1_I0+0+0+0:vgprValuB_X1_I0+0+0+0+1], v[vgprG2LA+108+0:vgprG2LA+108+0+1], a[48:55]
/*  mfmaIndex:23  */
	;; [unrolled: 2-line block ×10, first 2 shown]
v_mfma_f64_16x16x4_f64 a[120+0:127+0], v[vgprValuB_X1_I0+0+0+0:vgprValuB_X1_I0+0+0+0+1], v[vgprG2LA+126+0:vgprG2LA+126+0+1], a[120:127]
/* numPrefetchIter=0 */
/* dataAtIterA=0 numReadsIterA=1 skipReadsIterA=0 readsPerIterA=8 */
/* dataAtIterB=0 numReadsIterB=1 skipReadsIterB=0 readsPerIterB=1 */

TailLoopEndL_7:

label_0022: // EvenEndNoLoadLoopOrd 

s_waitcnt lgkmcnt(0)                               // lgkmcnt=0 vmcnt=-113wait for remaining local read for tail loop in NLL

s_waitcnt vmcnt(0)                                 // lgkmcnt=-1 vmcnt=014wait for remaining DirectToVgpr global read for tail loop in NLL

PrefetchGlobalLastIterEnd_5:

Summation_End_23:
s_setprio 0                                        // optimization store
/* endSummation: add vgpr [0...152) to pool */

/* Mapping of Acc register -> C Vgpr register */


	;; [unrolled: 1-line block ×3, first 2 shown]
/* not-LocalSplitU: global write indices */

/* computeStoreVgprs */
v_lshrrev_b32 v2, 6, v[vgprSerial]                 // v2 = v[vgprSerial] / 64
v_and_b32 v1, 63, v[vgprSerial]                    // v1 = v[vgprSerial] % 64
v_lshrrev_b32 v1, 4, v1                            // v1 = v1 / 16
                                                   // thread0 * continuous_output (multiplier is 1, do nothing)
v_lshrrev_b32 v3, 2, v2                            // v3 = v2 / 4
v_mul_lo_u32 v3, 0x10, v3                          // wave coordination offset 1
_v_add_lshl_u32 v1, v3, v1, 0                      // coordination 1 = vwb *(wave_id1 + tid1)
v_and_b32 v3, 3, v2                                // v3 = v2 % 4
v_mul_lo_u32 v3, 0x10, v3                          // wave coordination offset 0
v_and_b32 v0, 15, v[vgprSerial]                    // v0 = v[vgprSerial] % 16
_v_add_lshl_u32 v0, v3, v0, 1                      // coordination 0 = vwa *(wave_id0 + tid0)
s_mul_i32 s27, 1024, s[sgprWorkGroup0]             // wgp0 * MT0
_v_add_u32 v0, s27, v0                             // coord 0 = (tid0/MI_m)*4 + waveG0*MIB_m + MT0*SG0
s_mul_i32 s27, 16, s[sgprWorkGroup1]               // wgp1 * MT1
_v_add_u32 v1, s27, v1                             // coord 1 = (tid0%MI_m) + waveG1*MIB_n + MT1*SG1
v_mov_b32 v2, s[sgprAddressD+0]                    // sgpr -> vgpr
v_mov_b32 v3, s[sgprAddressD+1]                    // sgpr -> vgpr
v_mov_b32 v4, s[sgprAddressC+0]                    // sgpr -> vgpr
v_mov_b32 v5, s[sgprAddressC+1]                    // sgpr -> vgpr


/* not-LocalSplitU: global write */

s_mov_b32 s27, s[sgprBeta+0]                       // tmp = Beta[0]
s_or_b32 s27, s[sgprBeta+1], s27                   // tmp |= Beta[1] 
s_cmpk_eq_u32 s27, 0x0                             // Beta == 0
s_cbranch_scc0 GW_Beta_38                          // Branch if Beta is not zero

s_and_b32 s46, 1023, s[sgprSizeI]                  // s46 = s[sgprSizeI] % 1024
s_add_u32 s47, -0x1, s[sgprNumWorkGroups0]         // 
s_cmp_ge_u32 s[sgprWorkGroup0], s47                // wg0 >= nwg0-1 ?
s_cselect_b32 s46, s46, 0                          // set rMT0
s_cmpk_gt_u32 s46, 0x0                             // rMT0 > 0
s_cbranch_scc1 GW_B0_E1_29                         // jump if edges required
s_and_b32 s46, 15, s[sgprSizeJ]                    // s46 = s[sgprSizeJ] % 16
s_add_u32 s47, -0x1, s[sgprNumWorkGroups1]         // 
s_cmp_ge_u32 s[sgprWorkGroup1], s47                // wg1 >= nwg1-1
s_cselect_b32 s46, s46, 0                          // set rMT1
s_cmpk_gt_u32 s46, 0x0                             // rMT1 > 0
s_cbranch_scc1 GW_B0_E1_29                         // jump if edges required
GW_B0_E0_26:

/* edge=0, allocate 12 sgpr. perBatchTmpS=4 perBatchMaskS=0 perElementMaskS=2 elementsPerBatch=4 */
/* optSingleColVgpr=0 optSharedColVgpr=0 optSGPRUsage=None optSrdIncForRow=0 */
s_sleep 5 // optimization: sync and wait
s_barrier

/******************************************/
/* Global Write Alpha Batch #0 (d1,d0,vc1,vc0) = */
/*    (0,0,0,0:vw2); (0,1,0,0:vw2); (0,2,0,0:vw2); (0,3,0,0:vw2) */
/******************************************/

/* calc coords, apply mask, and issue loads (if necessary) */
/* (d1,vc1,d0,vc0)=(0,0,0,0) */
GLOBAL_OFFSET_D 12, 0, 1, sgprWorkGroup2, 8
v_mov_b32 v8, v12                                  // temp store offset 0
v_mov_b32 v9, v13                                  // temp store offset 1
_v_add_co_u32 v12, vcc, v2, v8                     // addrVgpr = D + index*bytes (lo)
_v_addc_co_u32 v13, vcc, v3, v9, vcc               // addrVgpr = D + index*bytes (hi)
/* (d1,vc1,d0,vc0)=(0,0,1,0) */
s_mov_b32 s46, 128                                 // coordOffset0 d0=1 vc0=0
_v_add_co_u32 v6, vcc, v0, s46                     // coord0.2: coord0 += d0*sg0*VW + vc0
GLOBAL_OFFSET_D 14, 6, 1, sgprWorkGroup2, 8
v_mov_b32 v8, v14                                  // temp store offset 0
v_mov_b32 v9, v15                                  // temp store offset 1
_v_add_co_u32 v14, vcc, v2, v8                     // addrVgpr = D + index*bytes (lo)
_v_addc_co_u32 v15, vcc, v3, v9, vcc               // addrVgpr = D + index*bytes (hi)
/* (d1,vc1,d0,vc0)=(0,0,2,0) */
s_mov_b32 s46, 256                                 // coordOffset0 d0=2 vc0=0
_v_add_co_u32 v6, vcc, v0, s46                     // coord0.2: coord0 += d0*sg0*VW + vc0
GLOBAL_OFFSET_D 24, 6, 1, sgprWorkGroup2, 8
v_mov_b32 v8, v24                                  // temp store offset 0
v_mov_b32 v9, v25                                  // temp store offset 1
_v_add_co_u32 v24, vcc, v2, v8                     // addrVgpr = D + index*bytes (lo)
_v_addc_co_u32 v25, vcc, v3, v9, vcc               // addrVgpr = D + index*bytes (hi)
/* (d1,vc1,d0,vc0)=(0,0,3,0) */
s_mov_b32 s46, 384                                 // coordOffset0 d0=3 vc0=0
_v_add_co_u32 v6, vcc, v0, s46                     // coord0.2: coord0 += d0*sg0*VW + vc0
GLOBAL_OFFSET_D 26, 6, 1, sgprWorkGroup2, 8
v_mov_b32 v8, v26                                  // temp store offset 0
v_mov_b32 v9, v27                                  // temp store offset 1
_v_add_co_u32 v26, vcc, v2, v8                     // addrVgpr = D + index*bytes (lo)
_v_addc_co_u32 v27, vcc, v3, v9, vcc               // addrVgpr = D + index*bytes (hi)
v_accvgpr_read_b32 v[vgprValuC+16], acc0 // copy acc to vreg[0]
v_accvgpr_read_b32 v[vgprValuC+17], acc1 // copy acc to vreg[1]
v_accvgpr_read_b32 v[vgprValuC+18], acc8 // copy acc to vreg[2]
v_accvgpr_read_b32 v[vgprValuC+19], acc9 // copy acc to vreg[3]
v_accvgpr_read_b32 v[vgprValuC+20], acc16 // copy acc to vreg[4]
v_accvgpr_read_b32 v[vgprValuC+21], acc17 // copy acc to vreg[5]
v_accvgpr_read_b32 v[vgprValuC+22], acc24 // copy acc to vreg[6]
v_accvgpr_read_b32 v[vgprValuC+23], acc25 // copy acc to vreg[7]
v_accvgpr_read_b32 v[vgprValuC+28], acc32 // copy acc to vreg[8]
v_accvgpr_read_b32 v[vgprValuC+29], acc33 // copy acc to vreg[9]
v_accvgpr_read_b32 v[vgprValuC+30], acc40 // copy acc to vreg[10]
v_accvgpr_read_b32 v[vgprValuC+31], acc41 // copy acc to vreg[11]
v_accvgpr_read_b32 v[vgprValuC+32], acc48 // copy acc to vreg[12]
v_accvgpr_read_b32 v[vgprValuC+33], acc49 // copy acc to vreg[13]
v_accvgpr_read_b32 v[vgprValuC+34], acc56 // copy acc to vreg[14]
v_accvgpr_read_b32 v[vgprValuC+35], acc57 // copy acc to vreg[15]
s_nop 1                                            // 2 wait states required before reading vgpr

/* rC *= alpha batchElements=[(0, 0, 0, 0), (0, 1, 0, 0), (0, 2, 0, 0), (0, 3, 0, 0)] */
v_mul_f64 v[vgprValuC+16:vgprValuC+16+1], s[sgprAlpha:sgprAlpha+1], v[vgprValuC+16:vgprValuC+16+1] // *= alpha
v_mul_f64 v[vgprValuC+18:vgprValuC+18+1], s[sgprAlpha:sgprAlpha+1], v[vgprValuC+18:vgprValuC+18+1] // *= alpha
	;; [unrolled: 1-line block ×8, first 2 shown]

/* apply mask, calc new C and issue writes */
_global_store_b128 v[12:13], v[16:19], off,  sc0 sc1 // store D
_global_store_b128 v[14:15], v[20:23], off,  sc0 sc1 // store D
	;; [unrolled: 1-line block ×4, first 2 shown]
s_nop 0                                            // 1 wait state required when next inst writes vgprs held by previous dwordx4 store inst
/* optSingleColVgpr=0 optSharedColVgpr=0 optSGPRUsage=None optSrdIncForRow=0 */
s_sleep 5 // optimization: sync and wait
s_barrier

/******************************************/
/* Global Write Alpha Batch #1 (d1,d0,vc1,vc0) = */
/*    (0,4,0,0:vw2); (0,5,0,0:vw2); (0,6,0,0:vw2); (0,7,0,0:vw2) */
/******************************************/

/* calc coords, apply mask, and issue loads (if necessary) */
/* (d1,vc1,d0,vc0)=(0,0,4,0) */
s_mov_b32 s46, 512                                 // coordOffset0 d0=4 vc0=0
_v_add_co_u32 v6, vcc, v0, s46                     // coord0.2: coord0 += d0*sg0*VW + vc0
GLOBAL_OFFSET_D 12, 6, 1, sgprWorkGroup2, 8
v_mov_b32 v8, v12                                  // temp store offset 0
v_mov_b32 v9, v13                                  // temp store offset 1
_v_add_co_u32 v12, vcc, v2, v8                     // addrVgpr = D + index*bytes (lo)
_v_addc_co_u32 v13, vcc, v3, v9, vcc               // addrVgpr = D + index*bytes (hi)
/* (d1,vc1,d0,vc0)=(0,0,5,0) */
s_mov_b32 s46, 640                                 // coordOffset0 d0=5 vc0=0
_v_add_co_u32 v6, vcc, v0, s46                     // coord0.2: coord0 += d0*sg0*VW + vc0
GLOBAL_OFFSET_D 14, 6, 1, sgprWorkGroup2, 8
v_mov_b32 v8, v14                                  // temp store offset 0
v_mov_b32 v9, v15                                  // temp store offset 1
_v_add_co_u32 v14, vcc, v2, v8                     // addrVgpr = D + index*bytes (lo)
_v_addc_co_u32 v15, vcc, v3, v9, vcc               // addrVgpr = D + index*bytes (hi)
/* (d1,vc1,d0,vc0)=(0,0,6,0) */
s_mov_b32 s46, 768                                 // coordOffset0 d0=6 vc0=0
_v_add_co_u32 v6, vcc, v0, s46                     // coord0.2: coord0 += d0*sg0*VW + vc0
GLOBAL_OFFSET_D 24, 6, 1, sgprWorkGroup2, 8
v_mov_b32 v8, v24                                  // temp store offset 0
v_mov_b32 v9, v25                                  // temp store offset 1
_v_add_co_u32 v24, vcc, v2, v8                     // addrVgpr = D + index*bytes (lo)
_v_addc_co_u32 v25, vcc, v3, v9, vcc               // addrVgpr = D + index*bytes (hi)
/* (d1,vc1,d0,vc0)=(0,0,7,0) */
s_mov_b32 s46, 896                                 // coordOffset0 d0=7 vc0=0
_v_add_co_u32 v6, vcc, v0, s46                     // coord0.2: coord0 += d0*sg0*VW + vc0
GLOBAL_OFFSET_D 26, 6, 1, sgprWorkGroup2, 8
v_mov_b32 v8, v26                                  // temp store offset 0
v_mov_b32 v9, v27                                  // temp store offset 1
_v_add_co_u32 v26, vcc, v2, v8                     // addrVgpr = D + index*bytes (lo)
_v_addc_co_u32 v27, vcc, v3, v9, vcc               // addrVgpr = D + index*bytes (hi)
v_accvgpr_read_b32 v[vgprValuC+16], acc64 // copy acc to vreg[16]
v_accvgpr_read_b32 v[vgprValuC+17], acc65 // copy acc to vreg[17]
v_accvgpr_read_b32 v[vgprValuC+18], acc72 // copy acc to vreg[18]
v_accvgpr_read_b32 v[vgprValuC+19], acc73 // copy acc to vreg[19]
v_accvgpr_read_b32 v[vgprValuC+20], acc80 // copy acc to vreg[20]
v_accvgpr_read_b32 v[vgprValuC+21], acc81 // copy acc to vreg[21]
v_accvgpr_read_b32 v[vgprValuC+22], acc88 // copy acc to vreg[22]
v_accvgpr_read_b32 v[vgprValuC+23], acc89 // copy acc to vreg[23]
v_accvgpr_read_b32 v[vgprValuC+28], acc96 // copy acc to vreg[24]
v_accvgpr_read_b32 v[vgprValuC+29], acc97 // copy acc to vreg[25]
v_accvgpr_read_b32 v[vgprValuC+30], acc104 // copy acc to vreg[26]
v_accvgpr_read_b32 v[vgprValuC+31], acc105 // copy acc to vreg[27]
v_accvgpr_read_b32 v[vgprValuC+32], acc112 // copy acc to vreg[28]
v_accvgpr_read_b32 v[vgprValuC+33], acc113 // copy acc to vreg[29]
v_accvgpr_read_b32 v[vgprValuC+34], acc120 // copy acc to vreg[30]
v_accvgpr_read_b32 v[vgprValuC+35], acc121 // copy acc to vreg[31]
s_nop 1                                            // 2 wait states required before reading vgpr

/* rC *= alpha batchElements=[(0, 4, 0, 0), (0, 5, 0, 0), (0, 6, 0, 0), (0, 7, 0, 0)] */
v_mul_f64 v[vgprValuC+16:vgprValuC+16+1], s[sgprAlpha:sgprAlpha+1], v[vgprValuC+16:vgprValuC+16+1] // *= alpha
v_mul_f64 v[vgprValuC+18:vgprValuC+18+1], s[sgprAlpha:sgprAlpha+1], v[vgprValuC+18:vgprValuC+18+1] // *= alpha
	;; [unrolled: 1-line block ×8, first 2 shown]

/* apply mask, calc new C and issue writes */
_global_store_b128 v[12:13], v[16:19], off,  sc0 sc1 // store D
_global_store_b128 v[14:15], v[20:23], off,  sc0 sc1 // store D
	;; [unrolled: 1-line block ×4, first 2 shown]
s_nop 0                                            // 1 wait state required when next inst writes vgprs held by previous dwordx4 store inst
/* optSingleColVgpr=0 optSharedColVgpr=0 optSGPRUsage=None optSrdIncForRow=0 */
s_sleep 5 // optimization: sync and wait
s_barrier

/******************************************/
/* Global Write Alpha Batch #2 (d1,d0,vc1,vc0) = */
/*    (1,0,0,0:vw2); (1,1,0,0:vw2); (1,2,0,0:vw2); (1,3,0,0:vw2) */
/******************************************/

/* calc coords, apply mask, and issue loads (if necessary) */
/* (d1,vc1,d0,vc0)=(1,0,0,0) */
_v_add_co_u32 v1, vcc, v1, 4                       // coord1.1: coord1Vgpr += d1*sg1*VW + vc1
GLOBAL_OFFSET_D 12, 0, 1, sgprWorkGroup2, 8
v_mov_b32 v8, v12                                  // temp store offset 0
v_mov_b32 v9, v13                                  // temp store offset 1
_v_add_co_u32 v12, vcc, v2, v8                     // addrVgpr = D + index*bytes (lo)
_v_addc_co_u32 v13, vcc, v3, v9, vcc               // addrVgpr = D + index*bytes (hi)
/* (d1,vc1,d0,vc0)=(1,0,1,0) */
s_mov_b32 s46, 128                                 // coordOffset0 d0=1 vc0=0
_v_add_co_u32 v6, vcc, v0, s46                     // coord0.2: coord0 += d0*sg0*VW + vc0
GLOBAL_OFFSET_D 14, 6, 1, sgprWorkGroup2, 8
v_mov_b32 v8, v14                                  // temp store offset 0
v_mov_b32 v9, v15                                  // temp store offset 1
_v_add_co_u32 v14, vcc, v2, v8                     // addrVgpr = D + index*bytes (lo)
_v_addc_co_u32 v15, vcc, v3, v9, vcc               // addrVgpr = D + index*bytes (hi)
/* (d1,vc1,d0,vc0)=(1,0,2,0) */
s_mov_b32 s46, 256                                 // coordOffset0 d0=2 vc0=0
_v_add_co_u32 v6, vcc, v0, s46                     // coord0.2: coord0 += d0*sg0*VW + vc0
	;; [unrolled: 8-line block ×3, first 2 shown]
GLOBAL_OFFSET_D 26, 6, 1, sgprWorkGroup2, 8
v_mov_b32 v8, v26                                  // temp store offset 0
v_mov_b32 v9, v27                                  // temp store offset 1
_v_add_co_u32 v26, vcc, v2, v8                     // addrVgpr = D + index*bytes (lo)
_v_addc_co_u32 v27, vcc, v3, v9, vcc               // addrVgpr = D + index*bytes (hi)
v_accvgpr_read_b32 v[vgprValuC+16], acc2 // copy acc to vreg[32]
v_accvgpr_read_b32 v[vgprValuC+17], acc3 // copy acc to vreg[33]
v_accvgpr_read_b32 v[vgprValuC+18], acc10 // copy acc to vreg[34]
v_accvgpr_read_b32 v[vgprValuC+19], acc11 // copy acc to vreg[35]
v_accvgpr_read_b32 v[vgprValuC+20], acc18 // copy acc to vreg[36]
v_accvgpr_read_b32 v[vgprValuC+21], acc19 // copy acc to vreg[37]
v_accvgpr_read_b32 v[vgprValuC+22], acc26 // copy acc to vreg[38]
v_accvgpr_read_b32 v[vgprValuC+23], acc27 // copy acc to vreg[39]
v_accvgpr_read_b32 v[vgprValuC+28], acc34 // copy acc to vreg[40]
v_accvgpr_read_b32 v[vgprValuC+29], acc35 // copy acc to vreg[41]
v_accvgpr_read_b32 v[vgprValuC+30], acc42 // copy acc to vreg[42]
v_accvgpr_read_b32 v[vgprValuC+31], acc43 // copy acc to vreg[43]
v_accvgpr_read_b32 v[vgprValuC+32], acc50 // copy acc to vreg[44]
v_accvgpr_read_b32 v[vgprValuC+33], acc51 // copy acc to vreg[45]
v_accvgpr_read_b32 v[vgprValuC+34], acc58 // copy acc to vreg[46]
v_accvgpr_read_b32 v[vgprValuC+35], acc59 // copy acc to vreg[47]
s_nop 1                                            // 2 wait states required before reading vgpr

/* rC *= alpha batchElements=[(1, 0, 0, 0), (1, 1, 0, 0), (1, 2, 0, 0), (1, 3, 0, 0)] */
v_mul_f64 v[vgprValuC+16:vgprValuC+16+1], s[sgprAlpha:sgprAlpha+1], v[vgprValuC+16:vgprValuC+16+1] // *= alpha
v_mul_f64 v[vgprValuC+18:vgprValuC+18+1], s[sgprAlpha:sgprAlpha+1], v[vgprValuC+18:vgprValuC+18+1] // *= alpha
	;; [unrolled: 1-line block ×8, first 2 shown]

/* apply mask, calc new C and issue writes */
_global_store_b128 v[12:13], v[16:19], off,  sc0 sc1 // store D
_global_store_b128 v[14:15], v[20:23], off,  sc0 sc1 // store D
	;; [unrolled: 1-line block ×4, first 2 shown]
s_nop 0                                            // 1 wait state required when next inst writes vgprs held by previous dwordx4 store inst
/* optSingleColVgpr=0 optSharedColVgpr=0 optSGPRUsage=None optSrdIncForRow=0 */
s_sleep 5 // optimization: sync and wait
s_barrier

/******************************************/
/* Global Write Alpha Batch #3 (d1,d0,vc1,vc0) = */
/*    (1,4,0,0:vw2); (1,5,0,0:vw2); (1,6,0,0:vw2); (1,7,0,0:vw2) */
/******************************************/

/* calc coords, apply mask, and issue loads (if necessary) */
/* (d1,vc1,d0,vc0)=(1,0,4,0) */
s_mov_b32 s46, 512                                 // coordOffset0 d0=4 vc0=0
_v_add_co_u32 v6, vcc, v0, s46                     // coord0.2: coord0 += d0*sg0*VW + vc0
GLOBAL_OFFSET_D 12, 6, 1, sgprWorkGroup2, 8
v_mov_b32 v8, v12                                  // temp store offset 0
v_mov_b32 v9, v13                                  // temp store offset 1
_v_add_co_u32 v12, vcc, v2, v8                     // addrVgpr = D + index*bytes (lo)
_v_addc_co_u32 v13, vcc, v3, v9, vcc               // addrVgpr = D + index*bytes (hi)
/* (d1,vc1,d0,vc0)=(1,0,5,0) */
s_mov_b32 s46, 640                                 // coordOffset0 d0=5 vc0=0
_v_add_co_u32 v6, vcc, v0, s46                     // coord0.2: coord0 += d0*sg0*VW + vc0
GLOBAL_OFFSET_D 14, 6, 1, sgprWorkGroup2, 8
v_mov_b32 v8, v14                                  // temp store offset 0
v_mov_b32 v9, v15                                  // temp store offset 1
_v_add_co_u32 v14, vcc, v2, v8                     // addrVgpr = D + index*bytes (lo)
_v_addc_co_u32 v15, vcc, v3, v9, vcc               // addrVgpr = D + index*bytes (hi)
	;; [unrolled: 8-line block ×4, first 2 shown]
v_accvgpr_read_b32 v[vgprValuC+16], acc66 // copy acc to vreg[48]
v_accvgpr_read_b32 v[vgprValuC+17], acc67 // copy acc to vreg[49]
v_accvgpr_read_b32 v[vgprValuC+18], acc74 // copy acc to vreg[50]
v_accvgpr_read_b32 v[vgprValuC+19], acc75 // copy acc to vreg[51]
v_accvgpr_read_b32 v[vgprValuC+20], acc82 // copy acc to vreg[52]
v_accvgpr_read_b32 v[vgprValuC+21], acc83 // copy acc to vreg[53]
v_accvgpr_read_b32 v[vgprValuC+22], acc90 // copy acc to vreg[54]
v_accvgpr_read_b32 v[vgprValuC+23], acc91 // copy acc to vreg[55]
v_accvgpr_read_b32 v[vgprValuC+28], acc98 // copy acc to vreg[56]
v_accvgpr_read_b32 v[vgprValuC+29], acc99 // copy acc to vreg[57]
v_accvgpr_read_b32 v[vgprValuC+30], acc106 // copy acc to vreg[58]
v_accvgpr_read_b32 v[vgprValuC+31], acc107 // copy acc to vreg[59]
v_accvgpr_read_b32 v[vgprValuC+32], acc114 // copy acc to vreg[60]
v_accvgpr_read_b32 v[vgprValuC+33], acc115 // copy acc to vreg[61]
v_accvgpr_read_b32 v[vgprValuC+34], acc122 // copy acc to vreg[62]
v_accvgpr_read_b32 v[vgprValuC+35], acc123 // copy acc to vreg[63]
s_nop 1                                            // 2 wait states required before reading vgpr

/* rC *= alpha batchElements=[(1, 4, 0, 0), (1, 5, 0, 0), (1, 6, 0, 0), (1, 7, 0, 0)] */
v_mul_f64 v[vgprValuC+16:vgprValuC+16+1], s[sgprAlpha:sgprAlpha+1], v[vgprValuC+16:vgprValuC+16+1] // *= alpha
v_mul_f64 v[vgprValuC+18:vgprValuC+18+1], s[sgprAlpha:sgprAlpha+1], v[vgprValuC+18:vgprValuC+18+1] // *= alpha
v_mul_f64 v[vgprValuC+20:vgprValuC+20+1], s[sgprAlpha:sgprAlpha+1], v[vgprValuC+20:vgprValuC+20+1] // *= alpha
v_mul_f64 v[vgprValuC+22:vgprValuC+22+1], s[sgprAlpha:sgprAlpha+1], v[vgprValuC+22:vgprValuC+22+1] // *= alpha
v_mul_f64 v[vgprValuC+28:vgprValuC+28+1], s[sgprAlpha:sgprAlpha+1], v[vgprValuC+28:vgprValuC+28+1] // *= alpha
v_mul_f64 v[vgprValuC+30:vgprValuC+30+1], s[sgprAlpha:sgprAlpha+1], v[vgprValuC+30:vgprValuC+30+1] // *= alpha
v_mul_f64 v[vgprValuC+32:vgprValuC+32+1], s[sgprAlpha:sgprAlpha+1], v[vgprValuC+32:vgprValuC+32+1] // *= alpha
v_mul_f64 v[vgprValuC+34:vgprValuC+34+1], s[sgprAlpha:sgprAlpha+1], v[vgprValuC+34:vgprValuC+34+1] // *= alpha

/* apply mask, calc new C and issue writes */
_global_store_b128 v[12:13], v[16:19], off,  sc0 sc1 // store D
_global_store_b128 v[14:15], v[20:23], off,  sc0 sc1 // store D
	;; [unrolled: 1-line block ×4, first 2 shown]
s_nop 0                                            // 1 wait state required when next inst writes vgprs held by previous dwordx4 store inst
/* optSingleColVgpr=0 optSharedColVgpr=0 optSGPRUsage=None optSrdIncForRow=0 */
s_sleep 5 // optimization: sync and wait
s_barrier

/******************************************/
/* Global Write Alpha Batch #4 (d1,d0,vc1,vc0) = */
/*    (2,0,0,0:vw2); (2,1,0,0:vw2); (2,2,0,0:vw2); (2,3,0,0:vw2) */
/******************************************/

/* calc coords, apply mask, and issue loads (if necessary) */
/* (d1,vc1,d0,vc0)=(2,0,0,0) */
_v_add_co_u32 v1, vcc, v1, 4                       // coord1.1: coord1Vgpr += d1*sg1*VW + vc1
GLOBAL_OFFSET_D 12, 0, 1, sgprWorkGroup2, 8
v_mov_b32 v8, v12                                  // temp store offset 0
v_mov_b32 v9, v13                                  // temp store offset 1
_v_add_co_u32 v12, vcc, v2, v8                     // addrVgpr = D + index*bytes (lo)
_v_addc_co_u32 v13, vcc, v3, v9, vcc               // addrVgpr = D + index*bytes (hi)
/* (d1,vc1,d0,vc0)=(2,0,1,0) */
s_mov_b32 s46, 128                                 // coordOffset0 d0=1 vc0=0
_v_add_co_u32 v6, vcc, v0, s46                     // coord0.2: coord0 += d0*sg0*VW + vc0
GLOBAL_OFFSET_D 14, 6, 1, sgprWorkGroup2, 8
v_mov_b32 v8, v14                                  // temp store offset 0
v_mov_b32 v9, v15                                  // temp store offset 1
_v_add_co_u32 v14, vcc, v2, v8                     // addrVgpr = D + index*bytes (lo)
_v_addc_co_u32 v15, vcc, v3, v9, vcc               // addrVgpr = D + index*bytes (hi)
/* (d1,vc1,d0,vc0)=(2,0,2,0) */
s_mov_b32 s46, 256                                 // coordOffset0 d0=2 vc0=0
_v_add_co_u32 v6, vcc, v0, s46                     // coord0.2: coord0 += d0*sg0*VW + vc0
	;; [unrolled: 8-line block ×3, first 2 shown]
GLOBAL_OFFSET_D 26, 6, 1, sgprWorkGroup2, 8
v_mov_b32 v8, v26                                  // temp store offset 0
v_mov_b32 v9, v27                                  // temp store offset 1
_v_add_co_u32 v26, vcc, v2, v8                     // addrVgpr = D + index*bytes (lo)
_v_addc_co_u32 v27, vcc, v3, v9, vcc               // addrVgpr = D + index*bytes (hi)
v_accvgpr_read_b32 v[vgprValuC+16], acc4 // copy acc to vreg[64]
v_accvgpr_read_b32 v[vgprValuC+17], acc5 // copy acc to vreg[65]
v_accvgpr_read_b32 v[vgprValuC+18], acc12 // copy acc to vreg[66]
v_accvgpr_read_b32 v[vgprValuC+19], acc13 // copy acc to vreg[67]
v_accvgpr_read_b32 v[vgprValuC+20], acc20 // copy acc to vreg[68]
v_accvgpr_read_b32 v[vgprValuC+21], acc21 // copy acc to vreg[69]
v_accvgpr_read_b32 v[vgprValuC+22], acc28 // copy acc to vreg[70]
v_accvgpr_read_b32 v[vgprValuC+23], acc29 // copy acc to vreg[71]
v_accvgpr_read_b32 v[vgprValuC+28], acc36 // copy acc to vreg[72]
v_accvgpr_read_b32 v[vgprValuC+29], acc37 // copy acc to vreg[73]
v_accvgpr_read_b32 v[vgprValuC+30], acc44 // copy acc to vreg[74]
v_accvgpr_read_b32 v[vgprValuC+31], acc45 // copy acc to vreg[75]
v_accvgpr_read_b32 v[vgprValuC+32], acc52 // copy acc to vreg[76]
v_accvgpr_read_b32 v[vgprValuC+33], acc53 // copy acc to vreg[77]
v_accvgpr_read_b32 v[vgprValuC+34], acc60 // copy acc to vreg[78]
v_accvgpr_read_b32 v[vgprValuC+35], acc61 // copy acc to vreg[79]
s_nop 1                                            // 2 wait states required before reading vgpr

/* rC *= alpha batchElements=[(2, 0, 0, 0), (2, 1, 0, 0), (2, 2, 0, 0), (2, 3, 0, 0)] */
v_mul_f64 v[vgprValuC+16:vgprValuC+16+1], s[sgprAlpha:sgprAlpha+1], v[vgprValuC+16:vgprValuC+16+1] // *= alpha
v_mul_f64 v[vgprValuC+18:vgprValuC+18+1], s[sgprAlpha:sgprAlpha+1], v[vgprValuC+18:vgprValuC+18+1] // *= alpha
	;; [unrolled: 1-line block ×8, first 2 shown]

/* apply mask, calc new C and issue writes */
_global_store_b128 v[12:13], v[16:19], off,  sc0 sc1 // store D
_global_store_b128 v[14:15], v[20:23], off,  sc0 sc1 // store D
	;; [unrolled: 1-line block ×4, first 2 shown]
s_nop 0                                            // 1 wait state required when next inst writes vgprs held by previous dwordx4 store inst
/* optSingleColVgpr=0 optSharedColVgpr=0 optSGPRUsage=None optSrdIncForRow=0 */
s_sleep 5 // optimization: sync and wait
s_barrier

/******************************************/
/* Global Write Alpha Batch #5 (d1,d0,vc1,vc0) = */
/*    (2,4,0,0:vw2); (2,5,0,0:vw2); (2,6,0,0:vw2); (2,7,0,0:vw2) */
/******************************************/

/* calc coords, apply mask, and issue loads (if necessary) */
/* (d1,vc1,d0,vc0)=(2,0,4,0) */
s_mov_b32 s46, 512                                 // coordOffset0 d0=4 vc0=0
_v_add_co_u32 v6, vcc, v0, s46                     // coord0.2: coord0 += d0*sg0*VW + vc0
GLOBAL_OFFSET_D 12, 6, 1, sgprWorkGroup2, 8
v_mov_b32 v8, v12                                  // temp store offset 0
v_mov_b32 v9, v13                                  // temp store offset 1
_v_add_co_u32 v12, vcc, v2, v8                     // addrVgpr = D + index*bytes (lo)
_v_addc_co_u32 v13, vcc, v3, v9, vcc               // addrVgpr = D + index*bytes (hi)
/* (d1,vc1,d0,vc0)=(2,0,5,0) */
s_mov_b32 s46, 640                                 // coordOffset0 d0=5 vc0=0
_v_add_co_u32 v6, vcc, v0, s46                     // coord0.2: coord0 += d0*sg0*VW + vc0
GLOBAL_OFFSET_D 14, 6, 1, sgprWorkGroup2, 8
v_mov_b32 v8, v14                                  // temp store offset 0
v_mov_b32 v9, v15                                  // temp store offset 1
_v_add_co_u32 v14, vcc, v2, v8                     // addrVgpr = D + index*bytes (lo)
_v_addc_co_u32 v15, vcc, v3, v9, vcc               // addrVgpr = D + index*bytes (hi)
	;; [unrolled: 8-line block ×4, first 2 shown]
v_accvgpr_read_b32 v[vgprValuC+16], acc68 // copy acc to vreg[80]
v_accvgpr_read_b32 v[vgprValuC+17], acc69 // copy acc to vreg[81]
v_accvgpr_read_b32 v[vgprValuC+18], acc76 // copy acc to vreg[82]
v_accvgpr_read_b32 v[vgprValuC+19], acc77 // copy acc to vreg[83]
v_accvgpr_read_b32 v[vgprValuC+20], acc84 // copy acc to vreg[84]
v_accvgpr_read_b32 v[vgprValuC+21], acc85 // copy acc to vreg[85]
v_accvgpr_read_b32 v[vgprValuC+22], acc92 // copy acc to vreg[86]
v_accvgpr_read_b32 v[vgprValuC+23], acc93 // copy acc to vreg[87]
v_accvgpr_read_b32 v[vgprValuC+28], acc100 // copy acc to vreg[88]
v_accvgpr_read_b32 v[vgprValuC+29], acc101 // copy acc to vreg[89]
v_accvgpr_read_b32 v[vgprValuC+30], acc108 // copy acc to vreg[90]
v_accvgpr_read_b32 v[vgprValuC+31], acc109 // copy acc to vreg[91]
v_accvgpr_read_b32 v[vgprValuC+32], acc116 // copy acc to vreg[92]
v_accvgpr_read_b32 v[vgprValuC+33], acc117 // copy acc to vreg[93]
v_accvgpr_read_b32 v[vgprValuC+34], acc124 // copy acc to vreg[94]
v_accvgpr_read_b32 v[vgprValuC+35], acc125 // copy acc to vreg[95]
s_nop 1                                            // 2 wait states required before reading vgpr

/* rC *= alpha batchElements=[(2, 4, 0, 0), (2, 5, 0, 0), (2, 6, 0, 0), (2, 7, 0, 0)] */
v_mul_f64 v[vgprValuC+16:vgprValuC+16+1], s[sgprAlpha:sgprAlpha+1], v[vgprValuC+16:vgprValuC+16+1] // *= alpha
v_mul_f64 v[vgprValuC+18:vgprValuC+18+1], s[sgprAlpha:sgprAlpha+1], v[vgprValuC+18:vgprValuC+18+1] // *= alpha
	;; [unrolled: 1-line block ×8, first 2 shown]

/* apply mask, calc new C and issue writes */
_global_store_b128 v[12:13], v[16:19], off,  sc0 sc1 // store D
_global_store_b128 v[14:15], v[20:23], off,  sc0 sc1 // store D
	;; [unrolled: 1-line block ×4, first 2 shown]
s_nop 0                                            // 1 wait state required when next inst writes vgprs held by previous dwordx4 store inst
/* optSingleColVgpr=0 optSharedColVgpr=0 optSGPRUsage=None optSrdIncForRow=0 */
s_sleep 5 // optimization: sync and wait
s_barrier

/******************************************/
/* Global Write Alpha Batch #6 (d1,d0,vc1,vc0) = */
/*    (3,0,0,0:vw2); (3,1,0,0:vw2); (3,2,0,0:vw2); (3,3,0,0:vw2) */
/******************************************/

/* calc coords, apply mask, and issue loads (if necessary) */
/* (d1,vc1,d0,vc0)=(3,0,0,0) */
_v_add_co_u32 v1, vcc, v1, 4                       // coord1.1: coord1Vgpr += d1*sg1*VW + vc1
GLOBAL_OFFSET_D 12, 0, 1, sgprWorkGroup2, 8
v_mov_b32 v8, v12                                  // temp store offset 0
v_mov_b32 v9, v13                                  // temp store offset 1
_v_add_co_u32 v12, vcc, v2, v8                     // addrVgpr = D + index*bytes (lo)
_v_addc_co_u32 v13, vcc, v3, v9, vcc               // addrVgpr = D + index*bytes (hi)
/* (d1,vc1,d0,vc0)=(3,0,1,0) */
s_mov_b32 s46, 128                                 // coordOffset0 d0=1 vc0=0
_v_add_co_u32 v6, vcc, v0, s46                     // coord0.2: coord0 += d0*sg0*VW + vc0
GLOBAL_OFFSET_D 14, 6, 1, sgprWorkGroup2, 8
v_mov_b32 v8, v14                                  // temp store offset 0
v_mov_b32 v9, v15                                  // temp store offset 1
_v_add_co_u32 v14, vcc, v2, v8                     // addrVgpr = D + index*bytes (lo)
_v_addc_co_u32 v15, vcc, v3, v9, vcc               // addrVgpr = D + index*bytes (hi)
/* (d1,vc1,d0,vc0)=(3,0,2,0) */
s_mov_b32 s46, 256                                 // coordOffset0 d0=2 vc0=0
_v_add_co_u32 v6, vcc, v0, s46                     // coord0.2: coord0 += d0*sg0*VW + vc0
	;; [unrolled: 8-line block ×3, first 2 shown]
GLOBAL_OFFSET_D 26, 6, 1, sgprWorkGroup2, 8
v_mov_b32 v8, v26                                  // temp store offset 0
v_mov_b32 v9, v27                                  // temp store offset 1
_v_add_co_u32 v26, vcc, v2, v8                     // addrVgpr = D + index*bytes (lo)
_v_addc_co_u32 v27, vcc, v3, v9, vcc               // addrVgpr = D + index*bytes (hi)
v_accvgpr_read_b32 v[vgprValuC+16], acc6 // copy acc to vreg[96]
v_accvgpr_read_b32 v[vgprValuC+17], acc7 // copy acc to vreg[97]
v_accvgpr_read_b32 v[vgprValuC+18], acc14 // copy acc to vreg[98]
v_accvgpr_read_b32 v[vgprValuC+19], acc15 // copy acc to vreg[99]
v_accvgpr_read_b32 v[vgprValuC+20], acc22 // copy acc to vreg[100]
v_accvgpr_read_b32 v[vgprValuC+21], acc23 // copy acc to vreg[101]
v_accvgpr_read_b32 v[vgprValuC+22], acc30 // copy acc to vreg[102]
v_accvgpr_read_b32 v[vgprValuC+23], acc31 // copy acc to vreg[103]
v_accvgpr_read_b32 v[vgprValuC+28], acc38 // copy acc to vreg[104]
v_accvgpr_read_b32 v[vgprValuC+29], acc39 // copy acc to vreg[105]
v_accvgpr_read_b32 v[vgprValuC+30], acc46 // copy acc to vreg[106]
v_accvgpr_read_b32 v[vgprValuC+31], acc47 // copy acc to vreg[107]
v_accvgpr_read_b32 v[vgprValuC+32], acc54 // copy acc to vreg[108]
v_accvgpr_read_b32 v[vgprValuC+33], acc55 // copy acc to vreg[109]
v_accvgpr_read_b32 v[vgprValuC+34], acc62 // copy acc to vreg[110]
v_accvgpr_read_b32 v[vgprValuC+35], acc63 // copy acc to vreg[111]
s_nop 1                                            // 2 wait states required before reading vgpr

/* rC *= alpha batchElements=[(3, 0, 0, 0), (3, 1, 0, 0), (3, 2, 0, 0), (3, 3, 0, 0)] */
v_mul_f64 v[vgprValuC+16:vgprValuC+16+1], s[sgprAlpha:sgprAlpha+1], v[vgprValuC+16:vgprValuC+16+1] // *= alpha
v_mul_f64 v[vgprValuC+18:vgprValuC+18+1], s[sgprAlpha:sgprAlpha+1], v[vgprValuC+18:vgprValuC+18+1] // *= alpha
v_mul_f64 v[vgprValuC+20:vgprValuC+20+1], s[sgprAlpha:sgprAlpha+1], v[vgprValuC+20:vgprValuC+20+1] // *= alpha
v_mul_f64 v[vgprValuC+22:vgprValuC+22+1], s[sgprAlpha:sgprAlpha+1], v[vgprValuC+22:vgprValuC+22+1] // *= alpha
v_mul_f64 v[vgprValuC+28:vgprValuC+28+1], s[sgprAlpha:sgprAlpha+1], v[vgprValuC+28:vgprValuC+28+1] // *= alpha
v_mul_f64 v[vgprValuC+30:vgprValuC+30+1], s[sgprAlpha:sgprAlpha+1], v[vgprValuC+30:vgprValuC+30+1] // *= alpha
v_mul_f64 v[vgprValuC+32:vgprValuC+32+1], s[sgprAlpha:sgprAlpha+1], v[vgprValuC+32:vgprValuC+32+1] // *= alpha
v_mul_f64 v[vgprValuC+34:vgprValuC+34+1], s[sgprAlpha:sgprAlpha+1], v[vgprValuC+34:vgprValuC+34+1] // *= alpha

/* apply mask, calc new C and issue writes */
_global_store_b128 v[12:13], v[16:19], off,  sc0 sc1 // store D
_global_store_b128 v[14:15], v[20:23], off,  sc0 sc1 // store D
	;; [unrolled: 1-line block ×4, first 2 shown]
s_nop 0                                            // 1 wait state required when next inst writes vgprs held by previous dwordx4 store inst
/* optSingleColVgpr=0 optSharedColVgpr=0 optSGPRUsage=None optSrdIncForRow=0 */
s_sleep 5 // optimization: sync and wait
s_barrier

/******************************************/
/* Global Write Alpha Batch #7 (d1,d0,vc1,vc0) = */
/*    (3,4,0,0:vw2); (3,5,0,0:vw2); (3,6,0,0:vw2); (3,7,0,0:vw2) */
/******************************************/

/* calc coords, apply mask, and issue loads (if necessary) */
/* (d1,vc1,d0,vc0)=(3,0,4,0) */
s_mov_b32 s46, 512                                 // coordOffset0 d0=4 vc0=0
_v_add_co_u32 v6, vcc, v0, s46                     // coord0.2: coord0 += d0*sg0*VW + vc0
GLOBAL_OFFSET_D 12, 6, 1, sgprWorkGroup2, 8
v_mov_b32 v8, v12                                  // temp store offset 0
v_mov_b32 v9, v13                                  // temp store offset 1
_v_add_co_u32 v12, vcc, v2, v8                     // addrVgpr = D + index*bytes (lo)
_v_addc_co_u32 v13, vcc, v3, v9, vcc               // addrVgpr = D + index*bytes (hi)
/* (d1,vc1,d0,vc0)=(3,0,5,0) */
s_mov_b32 s46, 640                                 // coordOffset0 d0=5 vc0=0
_v_add_co_u32 v6, vcc, v0, s46                     // coord0.2: coord0 += d0*sg0*VW + vc0
GLOBAL_OFFSET_D 14, 6, 1, sgprWorkGroup2, 8
v_mov_b32 v8, v14                                  // temp store offset 0
v_mov_b32 v9, v15                                  // temp store offset 1
_v_add_co_u32 v14, vcc, v2, v8                     // addrVgpr = D + index*bytes (lo)
_v_addc_co_u32 v15, vcc, v3, v9, vcc               // addrVgpr = D + index*bytes (hi)
/* (d1,vc1,d0,vc0)=(3,0,6,0) */
s_mov_b32 s46, 768                                 // coordOffset0 d0=6 vc0=0
_v_add_co_u32 v6, vcc, v0, s46                     // coord0.2: coord0 += d0*sg0*VW + vc0
GLOBAL_OFFSET_D 24, 6, 1, sgprWorkGroup2, 8
v_mov_b32 v8, v24                                  // temp store offset 0
v_mov_b32 v9, v25                                  // temp store offset 1
_v_add_co_u32 v24, vcc, v2, v8                     // addrVgpr = D + index*bytes (lo)
_v_addc_co_u32 v25, vcc, v3, v9, vcc               // addrVgpr = D + index*bytes (hi)
/* (d1,vc1,d0,vc0)=(3,0,7,0) */
s_mov_b32 s46, 896                                 // coordOffset0 d0=7 vc0=0
_v_add_co_u32 v6, vcc, v0, s46                     // coord0.2: coord0 += d0*sg0*VW + vc0
GLOBAL_OFFSET_D 26, 6, 1, sgprWorkGroup2, 8
v_mov_b32 v8, v26                                  // temp store offset 0
v_mov_b32 v9, v27                                  // temp store offset 1
_v_add_co_u32 v26, vcc, v2, v8                     // addrVgpr = D + index*bytes (lo)
_v_addc_co_u32 v27, vcc, v3, v9, vcc               // addrVgpr = D + index*bytes (hi)
v_accvgpr_read_b32 v[vgprValuC+16], acc70 // copy acc to vreg[112]
v_accvgpr_read_b32 v[vgprValuC+17], acc71 // copy acc to vreg[113]
v_accvgpr_read_b32 v[vgprValuC+18], acc78 // copy acc to vreg[114]
v_accvgpr_read_b32 v[vgprValuC+19], acc79 // copy acc to vreg[115]
v_accvgpr_read_b32 v[vgprValuC+20], acc86 // copy acc to vreg[116]
v_accvgpr_read_b32 v[vgprValuC+21], acc87 // copy acc to vreg[117]
v_accvgpr_read_b32 v[vgprValuC+22], acc94 // copy acc to vreg[118]
v_accvgpr_read_b32 v[vgprValuC+23], acc95 // copy acc to vreg[119]
v_accvgpr_read_b32 v[vgprValuC+28], acc102 // copy acc to vreg[120]
v_accvgpr_read_b32 v[vgprValuC+29], acc103 // copy acc to vreg[121]
v_accvgpr_read_b32 v[vgprValuC+30], acc110 // copy acc to vreg[122]
v_accvgpr_read_b32 v[vgprValuC+31], acc111 // copy acc to vreg[123]
v_accvgpr_read_b32 v[vgprValuC+32], acc118 // copy acc to vreg[124]
v_accvgpr_read_b32 v[vgprValuC+33], acc119 // copy acc to vreg[125]
v_accvgpr_read_b32 v[vgprValuC+34], acc126 // copy acc to vreg[126]
v_accvgpr_read_b32 v[vgprValuC+35], acc127 // copy acc to vreg[127]
s_nop 1                                            // 2 wait states required before reading vgpr

/* rC *= alpha batchElements=[(3, 4, 0, 0), (3, 5, 0, 0), (3, 6, 0, 0), (3, 7, 0, 0)] */
v_mul_f64 v[vgprValuC+16:vgprValuC+16+1], s[sgprAlpha:sgprAlpha+1], v[vgprValuC+16:vgprValuC+16+1] // *= alpha
v_mul_f64 v[vgprValuC+18:vgprValuC+18+1], s[sgprAlpha:sgprAlpha+1], v[vgprValuC+18:vgprValuC+18+1] // *= alpha
v_mul_f64 v[vgprValuC+20:vgprValuC+20+1], s[sgprAlpha:sgprAlpha+1], v[vgprValuC+20:vgprValuC+20+1] // *= alpha
v_mul_f64 v[vgprValuC+22:vgprValuC+22+1], s[sgprAlpha:sgprAlpha+1], v[vgprValuC+22:vgprValuC+22+1] // *= alpha
v_mul_f64 v[vgprValuC+28:vgprValuC+28+1], s[sgprAlpha:sgprAlpha+1], v[vgprValuC+28:vgprValuC+28+1] // *= alpha
v_mul_f64 v[vgprValuC+30:vgprValuC+30+1], s[sgprAlpha:sgprAlpha+1], v[vgprValuC+30:vgprValuC+30+1] // *= alpha
v_mul_f64 v[vgprValuC+32:vgprValuC+32+1], s[sgprAlpha:sgprAlpha+1], v[vgprValuC+32:vgprValuC+32+1] // *= alpha
v_mul_f64 v[vgprValuC+34:vgprValuC+34+1], s[sgprAlpha:sgprAlpha+1], v[vgprValuC+34:vgprValuC+34+1] // *= alpha

/* apply mask, calc new C and issue writes */
_global_store_b128 v[12:13], v[16:19], off,  sc0 sc1 // store D
_global_store_b128 v[14:15], v[20:23], off,  sc0 sc1 // store D
	;; [unrolled: 1-line block ×4, first 2 shown]
s_nop 0                                            // 1 wait state required when next inst writes vgprs held by previous dwordx4 store inst
s_branch label_GW_End_37                           // jump to end
GW_B0_E1_29:

/* edge=1, allocate 12 sgpr. perBatchTmpS=4 perBatchMaskS=0 perElementMaskS=2 elementsPerBatch=4 */
/* optSingleColVgpr=0 optSharedColVgpr=0 optSGPRUsage=None optSrdIncForRow=0 */
s_sleep 5 // optimization: sync and wait
s_barrier

/******************************************/
/* Global Write Alpha Edge Batch #0 (d1,d0,vc1,vc0) = */
/*    (0,0,0,0:vw2); (0,1,0,0:vw2); (0,2,0,0:vw2); (0,3,0,0:vw2) */
/******************************************/

/* calc coords, apply mask, and issue loads (if necessary) */
/* (d1,vc1,d0,vc0)=(0,0,0,0) */
GLOBAL_OFFSET_D 12, 0, 1, sgprWorkGroup2, 8
v_mov_b32 v8, v12                                  // temp store offset 0
v_mov_b32 v9, v13                                  // temp store offset 1
v_cmp_lt_u32 s[46:47], v0, s[sgprSizesFree+0]      // coord0 < size0
v_cmp_lt_u32 s[48:49], v1, s[sgprSizesFree+1]      // coord1 < size1
s_and_b64 s[50:51], s[46:47], s[48:49]             // in0 && in1
_v_add_co_u32 v12, vcc, v2, v8                     // addrVgpr = D + index*bytes (lo)
_v_addc_co_u32 v13, vcc, v3, v9, vcc               // addrVgpr = D + index*bytes (hi)
/* (d1,vc1,d0,vc0)=(0,0,1,0) */
s_mov_b32 s46, 128                                 // coordOffset0 d0=1 vc0=0
_v_add_co_u32 v6, vcc, v0, s46                     // coord0.2: coord0 += d0*sg0*VW + vc0
GLOBAL_OFFSET_D 14, 6, 1, sgprWorkGroup2, 8
v_mov_b32 v8, v14                                  // temp store offset 0
v_mov_b32 v9, v15                                  // temp store offset 1
v_cmp_lt_u32 s[46:47], v6, s[sgprSizesFree+0]      // coord0 < size0
v_cmp_lt_u32 s[48:49], v1, s[sgprSizesFree+1]      // coord1 < size1
s_and_b64 s[52:53], s[46:47], s[48:49]             // in0 && in1
_v_add_co_u32 v14, vcc, v2, v8                     // addrVgpr = D + index*bytes (lo)
_v_addc_co_u32 v15, vcc, v3, v9, vcc               // addrVgpr = D + index*bytes (hi)
/* (d1,vc1,d0,vc0)=(0,0,2,0) */
s_mov_b32 s46, 256                                 // coordOffset0 d0=2 vc0=0
_v_add_co_u32 v6, vcc, v0, s46                     // coord0.2: coord0 += d0*sg0*VW + vc0
	;; [unrolled: 11-line block ×3, first 2 shown]
GLOBAL_OFFSET_D 26, 6, 1, sgprWorkGroup2, 8
v_mov_b32 v8, v26                                  // temp store offset 0
v_mov_b32 v9, v27                                  // temp store offset 1
v_cmp_lt_u32 s[46:47], v6, s[sgprSizesFree+0]      // coord0 < size0
v_cmp_lt_u32 s[48:49], v1, s[sgprSizesFree+1]      // coord1 < size1
s_and_b64 s[56:57], s[46:47], s[48:49]             // in0 && in1
_v_add_co_u32 v26, vcc, v2, v8                     // addrVgpr = D + index*bytes (lo)
_v_addc_co_u32 v27, vcc, v3, v9, vcc               // addrVgpr = D + index*bytes (hi)
v_accvgpr_read_b32 v[vgprValuC+16], acc0 // copy acc to vreg[0]
v_accvgpr_read_b32 v[vgprValuC+17], acc1 // copy acc to vreg[1]
v_accvgpr_read_b32 v[vgprValuC+18], acc8 // copy acc to vreg[2]
v_accvgpr_read_b32 v[vgprValuC+19], acc9 // copy acc to vreg[3]
v_accvgpr_read_b32 v[vgprValuC+20], acc16 // copy acc to vreg[4]
v_accvgpr_read_b32 v[vgprValuC+21], acc17 // copy acc to vreg[5]
v_accvgpr_read_b32 v[vgprValuC+22], acc24 // copy acc to vreg[6]
v_accvgpr_read_b32 v[vgprValuC+23], acc25 // copy acc to vreg[7]
v_accvgpr_read_b32 v[vgprValuC+28], acc32 // copy acc to vreg[8]
v_accvgpr_read_b32 v[vgprValuC+29], acc33 // copy acc to vreg[9]
v_accvgpr_read_b32 v[vgprValuC+30], acc40 // copy acc to vreg[10]
v_accvgpr_read_b32 v[vgprValuC+31], acc41 // copy acc to vreg[11]
v_accvgpr_read_b32 v[vgprValuC+32], acc48 // copy acc to vreg[12]
v_accvgpr_read_b32 v[vgprValuC+33], acc49 // copy acc to vreg[13]
v_accvgpr_read_b32 v[vgprValuC+34], acc56 // copy acc to vreg[14]
v_accvgpr_read_b32 v[vgprValuC+35], acc57 // copy acc to vreg[15]
s_nop 1                                            // 2 wait states required before reading vgpr

/* rC *= alpha batchElements=[(0, 0, 0, 0), (0, 1, 0, 0), (0, 2, 0, 0), (0, 3, 0, 0)] */
v_mul_f64 v[vgprValuC+16:vgprValuC+16+1], s[sgprAlpha:sgprAlpha+1], v[vgprValuC+16:vgprValuC+16+1] // *= alpha
v_mul_f64 v[vgprValuC+18:vgprValuC+18+1], s[sgprAlpha:sgprAlpha+1], v[vgprValuC+18:vgprValuC+18+1] // *= alpha
	;; [unrolled: 1-line block ×8, first 2 shown]

/* apply mask, calc new C and issue writes */
s_mov_b64 exec, s[50:51]                           // sgprs -> exec
_global_store_b128 v[12:13], v[16:19], off,  sc0 sc1 // store D
s_mov_b64 exec, s[52:53]                           // sgprs -> exec
_global_store_b128 v[14:15], v[20:23], off,  sc0 sc1 // store D
	;; [unrolled: 2-line block ×4, first 2 shown]
s_mov_b64 exec, -1                                 // full mask -> exec
s_nop 0                                            // 1 wait state required when next inst writes vgprs held by previous dwordx4 store inst
/* optSingleColVgpr=0 optSharedColVgpr=0 optSGPRUsage=None optSrdIncForRow=0 */
s_sleep 5 // optimization: sync and wait
s_barrier

/******************************************/
/* Global Write Alpha Edge Batch #1 (d1,d0,vc1,vc0) = */
/*    (0,4,0,0:vw2); (0,5,0,0:vw2); (0,6,0,0:vw2); (0,7,0,0:vw2) */
/******************************************/

/* calc coords, apply mask, and issue loads (if necessary) */
/* (d1,vc1,d0,vc0)=(0,0,4,0) */
s_mov_b32 s46, 512                                 // coordOffset0 d0=4 vc0=0
_v_add_co_u32 v6, vcc, v0, s46                     // coord0.2: coord0 += d0*sg0*VW + vc0
GLOBAL_OFFSET_D 12, 6, 1, sgprWorkGroup2, 8
v_mov_b32 v8, v12                                  // temp store offset 0
v_mov_b32 v9, v13                                  // temp store offset 1
v_cmp_lt_u32 s[46:47], v6, s[sgprSizesFree+0]      // coord0 < size0
v_cmp_lt_u32 s[48:49], v1, s[sgprSizesFree+1]      // coord1 < size1
s_and_b64 s[50:51], s[46:47], s[48:49]             // in0 && in1
_v_add_co_u32 v12, vcc, v2, v8                     // addrVgpr = D + index*bytes (lo)
_v_addc_co_u32 v13, vcc, v3, v9, vcc               // addrVgpr = D + index*bytes (hi)
/* (d1,vc1,d0,vc0)=(0,0,5,0) */
s_mov_b32 s46, 640                                 // coordOffset0 d0=5 vc0=0
_v_add_co_u32 v6, vcc, v0, s46                     // coord0.2: coord0 += d0*sg0*VW + vc0
GLOBAL_OFFSET_D 14, 6, 1, sgprWorkGroup2, 8
v_mov_b32 v8, v14                                  // temp store offset 0
v_mov_b32 v9, v15                                  // temp store offset 1
v_cmp_lt_u32 s[46:47], v6, s[sgprSizesFree+0]      // coord0 < size0
v_cmp_lt_u32 s[48:49], v1, s[sgprSizesFree+1]      // coord1 < size1
s_and_b64 s[52:53], s[46:47], s[48:49]             // in0 && in1
_v_add_co_u32 v14, vcc, v2, v8                     // addrVgpr = D + index*bytes (lo)
_v_addc_co_u32 v15, vcc, v3, v9, vcc               // addrVgpr = D + index*bytes (hi)
/* (d1,vc1,d0,vc0)=(0,0,6,0) */
s_mov_b32 s46, 768                                 // coordOffset0 d0=6 vc0=0
_v_add_co_u32 v6, vcc, v0, s46                     // coord0.2: coord0 += d0*sg0*VW + vc0
GLOBAL_OFFSET_D 24, 6, 1, sgprWorkGroup2, 8
v_mov_b32 v8, v24                                  // temp store offset 0
v_mov_b32 v9, v25                                  // temp store offset 1
v_cmp_lt_u32 s[46:47], v6, s[sgprSizesFree+0]      // coord0 < size0
v_cmp_lt_u32 s[48:49], v1, s[sgprSizesFree+1]      // coord1 < size1
s_and_b64 s[54:55], s[46:47], s[48:49]             // in0 && in1
_v_add_co_u32 v24, vcc, v2, v8                     // addrVgpr = D + index*bytes (lo)
_v_addc_co_u32 v25, vcc, v3, v9, vcc               // addrVgpr = D + index*bytes (hi)
/* (d1,vc1,d0,vc0)=(0,0,7,0) */
s_mov_b32 s46, 896                                 // coordOffset0 d0=7 vc0=0
_v_add_co_u32 v6, vcc, v0, s46                     // coord0.2: coord0 += d0*sg0*VW + vc0
GLOBAL_OFFSET_D 26, 6, 1, sgprWorkGroup2, 8
v_mov_b32 v8, v26                                  // temp store offset 0
v_mov_b32 v9, v27                                  // temp store offset 1
v_cmp_lt_u32 s[46:47], v6, s[sgprSizesFree+0]      // coord0 < size0
v_cmp_lt_u32 s[48:49], v1, s[sgprSizesFree+1]      // coord1 < size1
s_and_b64 s[56:57], s[46:47], s[48:49]             // in0 && in1
_v_add_co_u32 v26, vcc, v2, v8                     // addrVgpr = D + index*bytes (lo)
_v_addc_co_u32 v27, vcc, v3, v9, vcc               // addrVgpr = D + index*bytes (hi)
v_accvgpr_read_b32 v[vgprValuC+16], acc64 // copy acc to vreg[16]
v_accvgpr_read_b32 v[vgprValuC+17], acc65 // copy acc to vreg[17]
v_accvgpr_read_b32 v[vgprValuC+18], acc72 // copy acc to vreg[18]
v_accvgpr_read_b32 v[vgprValuC+19], acc73 // copy acc to vreg[19]
v_accvgpr_read_b32 v[vgprValuC+20], acc80 // copy acc to vreg[20]
v_accvgpr_read_b32 v[vgprValuC+21], acc81 // copy acc to vreg[21]
v_accvgpr_read_b32 v[vgprValuC+22], acc88 // copy acc to vreg[22]
v_accvgpr_read_b32 v[vgprValuC+23], acc89 // copy acc to vreg[23]
v_accvgpr_read_b32 v[vgprValuC+28], acc96 // copy acc to vreg[24]
v_accvgpr_read_b32 v[vgprValuC+29], acc97 // copy acc to vreg[25]
v_accvgpr_read_b32 v[vgprValuC+30], acc104 // copy acc to vreg[26]
v_accvgpr_read_b32 v[vgprValuC+31], acc105 // copy acc to vreg[27]
v_accvgpr_read_b32 v[vgprValuC+32], acc112 // copy acc to vreg[28]
v_accvgpr_read_b32 v[vgprValuC+33], acc113 // copy acc to vreg[29]
v_accvgpr_read_b32 v[vgprValuC+34], acc120 // copy acc to vreg[30]
v_accvgpr_read_b32 v[vgprValuC+35], acc121 // copy acc to vreg[31]
s_nop 1                                            // 2 wait states required before reading vgpr

/* rC *= alpha batchElements=[(0, 4, 0, 0), (0, 5, 0, 0), (0, 6, 0, 0), (0, 7, 0, 0)] */
v_mul_f64 v[vgprValuC+16:vgprValuC+16+1], s[sgprAlpha:sgprAlpha+1], v[vgprValuC+16:vgprValuC+16+1] // *= alpha
v_mul_f64 v[vgprValuC+18:vgprValuC+18+1], s[sgprAlpha:sgprAlpha+1], v[vgprValuC+18:vgprValuC+18+1] // *= alpha
	;; [unrolled: 1-line block ×8, first 2 shown]

/* apply mask, calc new C and issue writes */
s_mov_b64 exec, s[50:51]                           // sgprs -> exec
_global_store_b128 v[12:13], v[16:19], off,  sc0 sc1 // store D
s_mov_b64 exec, s[52:53]                           // sgprs -> exec
_global_store_b128 v[14:15], v[20:23], off,  sc0 sc1 // store D
s_mov_b64 exec, s[54:55]                           // sgprs -> exec
_global_store_b128 v[24:25], v[28:31], off,  sc0 sc1 // store D
s_mov_b64 exec, s[56:57]                           // sgprs -> exec
_global_store_b128 v[26:27], v[32:35], off,  sc0 sc1 // store D
s_mov_b64 exec, -1                                 // full mask -> exec
s_nop 0                                            // 1 wait state required when next inst writes vgprs held by previous dwordx4 store inst
/* optSingleColVgpr=0 optSharedColVgpr=0 optSGPRUsage=None optSrdIncForRow=0 */
s_sleep 5 // optimization: sync and wait
s_barrier

/******************************************/
/* Global Write Alpha Edge Batch #2 (d1,d0,vc1,vc0) = */
/*    (1,0,0,0:vw2); (1,1,0,0:vw2); (1,2,0,0:vw2); (1,3,0,0:vw2) */
/******************************************/

/* calc coords, apply mask, and issue loads (if necessary) */
/* (d1,vc1,d0,vc0)=(1,0,0,0) */
_v_add_co_u32 v1, vcc, v1, 4                       // coord1.1: coord1Vgpr += d1*sg1*VW + vc1
GLOBAL_OFFSET_D 12, 0, 1, sgprWorkGroup2, 8
v_mov_b32 v8, v12                                  // temp store offset 0
v_mov_b32 v9, v13                                  // temp store offset 1
v_cmp_lt_u32 s[46:47], v0, s[sgprSizesFree+0]      // coord0 < size0
v_cmp_lt_u32 s[48:49], v1, s[sgprSizesFree+1]      // coord1 < size1
s_and_b64 s[50:51], s[46:47], s[48:49]             // in0 && in1
_v_add_co_u32 v12, vcc, v2, v8                     // addrVgpr = D + index*bytes (lo)
_v_addc_co_u32 v13, vcc, v3, v9, vcc               // addrVgpr = D + index*bytes (hi)
/* (d1,vc1,d0,vc0)=(1,0,1,0) */
s_mov_b32 s46, 128                                 // coordOffset0 d0=1 vc0=0
_v_add_co_u32 v6, vcc, v0, s46                     // coord0.2: coord0 += d0*sg0*VW + vc0
GLOBAL_OFFSET_D 14, 6, 1, sgprWorkGroup2, 8
v_mov_b32 v8, v14                                  // temp store offset 0
v_mov_b32 v9, v15                                  // temp store offset 1
v_cmp_lt_u32 s[46:47], v6, s[sgprSizesFree+0]      // coord0 < size0
v_cmp_lt_u32 s[48:49], v1, s[sgprSizesFree+1]      // coord1 < size1
s_and_b64 s[52:53], s[46:47], s[48:49]             // in0 && in1
_v_add_co_u32 v14, vcc, v2, v8                     // addrVgpr = D + index*bytes (lo)
_v_addc_co_u32 v15, vcc, v3, v9, vcc               // addrVgpr = D + index*bytes (hi)
/* (d1,vc1,d0,vc0)=(1,0,2,0) */
s_mov_b32 s46, 256                                 // coordOffset0 d0=2 vc0=0
_v_add_co_u32 v6, vcc, v0, s46                     // coord0.2: coord0 += d0*sg0*VW + vc0
	;; [unrolled: 11-line block ×3, first 2 shown]
GLOBAL_OFFSET_D 26, 6, 1, sgprWorkGroup2, 8
v_mov_b32 v8, v26                                  // temp store offset 0
v_mov_b32 v9, v27                                  // temp store offset 1
v_cmp_lt_u32 s[46:47], v6, s[sgprSizesFree+0]      // coord0 < size0
v_cmp_lt_u32 s[48:49], v1, s[sgprSizesFree+1]      // coord1 < size1
s_and_b64 s[56:57], s[46:47], s[48:49]             // in0 && in1
_v_add_co_u32 v26, vcc, v2, v8                     // addrVgpr = D + index*bytes (lo)
_v_addc_co_u32 v27, vcc, v3, v9, vcc               // addrVgpr = D + index*bytes (hi)
v_accvgpr_read_b32 v[vgprValuC+16], acc2 // copy acc to vreg[32]
v_accvgpr_read_b32 v[vgprValuC+17], acc3 // copy acc to vreg[33]
v_accvgpr_read_b32 v[vgprValuC+18], acc10 // copy acc to vreg[34]
v_accvgpr_read_b32 v[vgprValuC+19], acc11 // copy acc to vreg[35]
v_accvgpr_read_b32 v[vgprValuC+20], acc18 // copy acc to vreg[36]
v_accvgpr_read_b32 v[vgprValuC+21], acc19 // copy acc to vreg[37]
v_accvgpr_read_b32 v[vgprValuC+22], acc26 // copy acc to vreg[38]
v_accvgpr_read_b32 v[vgprValuC+23], acc27 // copy acc to vreg[39]
v_accvgpr_read_b32 v[vgprValuC+28], acc34 // copy acc to vreg[40]
v_accvgpr_read_b32 v[vgprValuC+29], acc35 // copy acc to vreg[41]
v_accvgpr_read_b32 v[vgprValuC+30], acc42 // copy acc to vreg[42]
v_accvgpr_read_b32 v[vgprValuC+31], acc43 // copy acc to vreg[43]
v_accvgpr_read_b32 v[vgprValuC+32], acc50 // copy acc to vreg[44]
v_accvgpr_read_b32 v[vgprValuC+33], acc51 // copy acc to vreg[45]
v_accvgpr_read_b32 v[vgprValuC+34], acc58 // copy acc to vreg[46]
v_accvgpr_read_b32 v[vgprValuC+35], acc59 // copy acc to vreg[47]
s_nop 1                                            // 2 wait states required before reading vgpr

/* rC *= alpha batchElements=[(1, 0, 0, 0), (1, 1, 0, 0), (1, 2, 0, 0), (1, 3, 0, 0)] */
v_mul_f64 v[vgprValuC+16:vgprValuC+16+1], s[sgprAlpha:sgprAlpha+1], v[vgprValuC+16:vgprValuC+16+1] // *= alpha
v_mul_f64 v[vgprValuC+18:vgprValuC+18+1], s[sgprAlpha:sgprAlpha+1], v[vgprValuC+18:vgprValuC+18+1] // *= alpha
	;; [unrolled: 1-line block ×8, first 2 shown]

/* apply mask, calc new C and issue writes */
s_mov_b64 exec, s[50:51]                           // sgprs -> exec
_global_store_b128 v[12:13], v[16:19], off,  sc0 sc1 // store D
s_mov_b64 exec, s[52:53]                           // sgprs -> exec
_global_store_b128 v[14:15], v[20:23], off,  sc0 sc1 // store D
	;; [unrolled: 2-line block ×4, first 2 shown]
s_mov_b64 exec, -1                                 // full mask -> exec
s_nop 0                                            // 1 wait state required when next inst writes vgprs held by previous dwordx4 store inst
/* optSingleColVgpr=0 optSharedColVgpr=0 optSGPRUsage=None optSrdIncForRow=0 */
s_sleep 5 // optimization: sync and wait
s_barrier

/******************************************/
/* Global Write Alpha Edge Batch #3 (d1,d0,vc1,vc0) = */
/*    (1,4,0,0:vw2); (1,5,0,0:vw2); (1,6,0,0:vw2); (1,7,0,0:vw2) */
/******************************************/

/* calc coords, apply mask, and issue loads (if necessary) */
/* (d1,vc1,d0,vc0)=(1,0,4,0) */
s_mov_b32 s46, 512                                 // coordOffset0 d0=4 vc0=0
_v_add_co_u32 v6, vcc, v0, s46                     // coord0.2: coord0 += d0*sg0*VW + vc0
GLOBAL_OFFSET_D 12, 6, 1, sgprWorkGroup2, 8
v_mov_b32 v8, v12                                  // temp store offset 0
v_mov_b32 v9, v13                                  // temp store offset 1
v_cmp_lt_u32 s[46:47], v6, s[sgprSizesFree+0]      // coord0 < size0
v_cmp_lt_u32 s[48:49], v1, s[sgprSizesFree+1]      // coord1 < size1
s_and_b64 s[50:51], s[46:47], s[48:49]             // in0 && in1
_v_add_co_u32 v12, vcc, v2, v8                     // addrVgpr = D + index*bytes (lo)
_v_addc_co_u32 v13, vcc, v3, v9, vcc               // addrVgpr = D + index*bytes (hi)
/* (d1,vc1,d0,vc0)=(1,0,5,0) */
s_mov_b32 s46, 640                                 // coordOffset0 d0=5 vc0=0
_v_add_co_u32 v6, vcc, v0, s46                     // coord0.2: coord0 += d0*sg0*VW + vc0
GLOBAL_OFFSET_D 14, 6, 1, sgprWorkGroup2, 8
v_mov_b32 v8, v14                                  // temp store offset 0
v_mov_b32 v9, v15                                  // temp store offset 1
v_cmp_lt_u32 s[46:47], v6, s[sgprSizesFree+0]      // coord0 < size0
v_cmp_lt_u32 s[48:49], v1, s[sgprSizesFree+1]      // coord1 < size1
s_and_b64 s[52:53], s[46:47], s[48:49]             // in0 && in1
_v_add_co_u32 v14, vcc, v2, v8                     // addrVgpr = D + index*bytes (lo)
_v_addc_co_u32 v15, vcc, v3, v9, vcc               // addrVgpr = D + index*bytes (hi)
	;; [unrolled: 11-line block ×4, first 2 shown]
v_accvgpr_read_b32 v[vgprValuC+16], acc66 // copy acc to vreg[48]
v_accvgpr_read_b32 v[vgprValuC+17], acc67 // copy acc to vreg[49]
v_accvgpr_read_b32 v[vgprValuC+18], acc74 // copy acc to vreg[50]
v_accvgpr_read_b32 v[vgprValuC+19], acc75 // copy acc to vreg[51]
v_accvgpr_read_b32 v[vgprValuC+20], acc82 // copy acc to vreg[52]
v_accvgpr_read_b32 v[vgprValuC+21], acc83 // copy acc to vreg[53]
v_accvgpr_read_b32 v[vgprValuC+22], acc90 // copy acc to vreg[54]
v_accvgpr_read_b32 v[vgprValuC+23], acc91 // copy acc to vreg[55]
v_accvgpr_read_b32 v[vgprValuC+28], acc98 // copy acc to vreg[56]
v_accvgpr_read_b32 v[vgprValuC+29], acc99 // copy acc to vreg[57]
v_accvgpr_read_b32 v[vgprValuC+30], acc106 // copy acc to vreg[58]
v_accvgpr_read_b32 v[vgprValuC+31], acc107 // copy acc to vreg[59]
v_accvgpr_read_b32 v[vgprValuC+32], acc114 // copy acc to vreg[60]
v_accvgpr_read_b32 v[vgprValuC+33], acc115 // copy acc to vreg[61]
v_accvgpr_read_b32 v[vgprValuC+34], acc122 // copy acc to vreg[62]
v_accvgpr_read_b32 v[vgprValuC+35], acc123 // copy acc to vreg[63]
s_nop 1                                            // 2 wait states required before reading vgpr

/* rC *= alpha batchElements=[(1, 4, 0, 0), (1, 5, 0, 0), (1, 6, 0, 0), (1, 7, 0, 0)] */
v_mul_f64 v[vgprValuC+16:vgprValuC+16+1], s[sgprAlpha:sgprAlpha+1], v[vgprValuC+16:vgprValuC+16+1] // *= alpha
v_mul_f64 v[vgprValuC+18:vgprValuC+18+1], s[sgprAlpha:sgprAlpha+1], v[vgprValuC+18:vgprValuC+18+1] // *= alpha
	;; [unrolled: 1-line block ×8, first 2 shown]

/* apply mask, calc new C and issue writes */
s_mov_b64 exec, s[50:51]                           // sgprs -> exec
_global_store_b128 v[12:13], v[16:19], off,  sc0 sc1 // store D
s_mov_b64 exec, s[52:53]                           // sgprs -> exec
_global_store_b128 v[14:15], v[20:23], off,  sc0 sc1 // store D
	;; [unrolled: 2-line block ×4, first 2 shown]
s_mov_b64 exec, -1                                 // full mask -> exec
s_nop 0                                            // 1 wait state required when next inst writes vgprs held by previous dwordx4 store inst
/* optSingleColVgpr=0 optSharedColVgpr=0 optSGPRUsage=None optSrdIncForRow=0 */
s_sleep 5 // optimization: sync and wait
s_barrier

/******************************************/
/* Global Write Alpha Edge Batch #4 (d1,d0,vc1,vc0) = */
/*    (2,0,0,0:vw2); (2,1,0,0:vw2); (2,2,0,0:vw2); (2,3,0,0:vw2) */
/******************************************/

/* calc coords, apply mask, and issue loads (if necessary) */
/* (d1,vc1,d0,vc0)=(2,0,0,0) */
_v_add_co_u32 v1, vcc, v1, 4                       // coord1.1: coord1Vgpr += d1*sg1*VW + vc1
GLOBAL_OFFSET_D 12, 0, 1, sgprWorkGroup2, 8
v_mov_b32 v8, v12                                  // temp store offset 0
v_mov_b32 v9, v13                                  // temp store offset 1
v_cmp_lt_u32 s[46:47], v0, s[sgprSizesFree+0]      // coord0 < size0
v_cmp_lt_u32 s[48:49], v1, s[sgprSizesFree+1]      // coord1 < size1
s_and_b64 s[50:51], s[46:47], s[48:49]             // in0 && in1
_v_add_co_u32 v12, vcc, v2, v8                     // addrVgpr = D + index*bytes (lo)
_v_addc_co_u32 v13, vcc, v3, v9, vcc               // addrVgpr = D + index*bytes (hi)
/* (d1,vc1,d0,vc0)=(2,0,1,0) */
s_mov_b32 s46, 128                                 // coordOffset0 d0=1 vc0=0
_v_add_co_u32 v6, vcc, v0, s46                     // coord0.2: coord0 += d0*sg0*VW + vc0
GLOBAL_OFFSET_D 14, 6, 1, sgprWorkGroup2, 8
v_mov_b32 v8, v14                                  // temp store offset 0
v_mov_b32 v9, v15                                  // temp store offset 1
v_cmp_lt_u32 s[46:47], v6, s[sgprSizesFree+0]      // coord0 < size0
v_cmp_lt_u32 s[48:49], v1, s[sgprSizesFree+1]      // coord1 < size1
s_and_b64 s[52:53], s[46:47], s[48:49]             // in0 && in1
_v_add_co_u32 v14, vcc, v2, v8                     // addrVgpr = D + index*bytes (lo)
_v_addc_co_u32 v15, vcc, v3, v9, vcc               // addrVgpr = D + index*bytes (hi)
/* (d1,vc1,d0,vc0)=(2,0,2,0) */
s_mov_b32 s46, 256                                 // coordOffset0 d0=2 vc0=0
_v_add_co_u32 v6, vcc, v0, s46                     // coord0.2: coord0 += d0*sg0*VW + vc0
	;; [unrolled: 11-line block ×3, first 2 shown]
GLOBAL_OFFSET_D 26, 6, 1, sgprWorkGroup2, 8
v_mov_b32 v8, v26                                  // temp store offset 0
v_mov_b32 v9, v27                                  // temp store offset 1
v_cmp_lt_u32 s[46:47], v6, s[sgprSizesFree+0]      // coord0 < size0
v_cmp_lt_u32 s[48:49], v1, s[sgprSizesFree+1]      // coord1 < size1
s_and_b64 s[56:57], s[46:47], s[48:49]             // in0 && in1
_v_add_co_u32 v26, vcc, v2, v8                     // addrVgpr = D + index*bytes (lo)
_v_addc_co_u32 v27, vcc, v3, v9, vcc               // addrVgpr = D + index*bytes (hi)
v_accvgpr_read_b32 v[vgprValuC+16], acc4 // copy acc to vreg[64]
v_accvgpr_read_b32 v[vgprValuC+17], acc5 // copy acc to vreg[65]
v_accvgpr_read_b32 v[vgprValuC+18], acc12 // copy acc to vreg[66]
v_accvgpr_read_b32 v[vgprValuC+19], acc13 // copy acc to vreg[67]
v_accvgpr_read_b32 v[vgprValuC+20], acc20 // copy acc to vreg[68]
v_accvgpr_read_b32 v[vgprValuC+21], acc21 // copy acc to vreg[69]
v_accvgpr_read_b32 v[vgprValuC+22], acc28 // copy acc to vreg[70]
v_accvgpr_read_b32 v[vgprValuC+23], acc29 // copy acc to vreg[71]
v_accvgpr_read_b32 v[vgprValuC+28], acc36 // copy acc to vreg[72]
v_accvgpr_read_b32 v[vgprValuC+29], acc37 // copy acc to vreg[73]
v_accvgpr_read_b32 v[vgprValuC+30], acc44 // copy acc to vreg[74]
v_accvgpr_read_b32 v[vgprValuC+31], acc45 // copy acc to vreg[75]
v_accvgpr_read_b32 v[vgprValuC+32], acc52 // copy acc to vreg[76]
v_accvgpr_read_b32 v[vgprValuC+33], acc53 // copy acc to vreg[77]
v_accvgpr_read_b32 v[vgprValuC+34], acc60 // copy acc to vreg[78]
v_accvgpr_read_b32 v[vgprValuC+35], acc61 // copy acc to vreg[79]
s_nop 1                                            // 2 wait states required before reading vgpr

/* rC *= alpha batchElements=[(2, 0, 0, 0), (2, 1, 0, 0), (2, 2, 0, 0), (2, 3, 0, 0)] */
v_mul_f64 v[vgprValuC+16:vgprValuC+16+1], s[sgprAlpha:sgprAlpha+1], v[vgprValuC+16:vgprValuC+16+1] // *= alpha
v_mul_f64 v[vgprValuC+18:vgprValuC+18+1], s[sgprAlpha:sgprAlpha+1], v[vgprValuC+18:vgprValuC+18+1] // *= alpha
v_mul_f64 v[vgprValuC+20:vgprValuC+20+1], s[sgprAlpha:sgprAlpha+1], v[vgprValuC+20:vgprValuC+20+1] // *= alpha
v_mul_f64 v[vgprValuC+22:vgprValuC+22+1], s[sgprAlpha:sgprAlpha+1], v[vgprValuC+22:vgprValuC+22+1] // *= alpha
v_mul_f64 v[vgprValuC+28:vgprValuC+28+1], s[sgprAlpha:sgprAlpha+1], v[vgprValuC+28:vgprValuC+28+1] // *= alpha
v_mul_f64 v[vgprValuC+30:vgprValuC+30+1], s[sgprAlpha:sgprAlpha+1], v[vgprValuC+30:vgprValuC+30+1] // *= alpha
v_mul_f64 v[vgprValuC+32:vgprValuC+32+1], s[sgprAlpha:sgprAlpha+1], v[vgprValuC+32:vgprValuC+32+1] // *= alpha
v_mul_f64 v[vgprValuC+34:vgprValuC+34+1], s[sgprAlpha:sgprAlpha+1], v[vgprValuC+34:vgprValuC+34+1] // *= alpha

/* apply mask, calc new C and issue writes */
s_mov_b64 exec, s[50:51]                           // sgprs -> exec
_global_store_b128 v[12:13], v[16:19], off,  sc0 sc1 // store D
s_mov_b64 exec, s[52:53]                           // sgprs -> exec
_global_store_b128 v[14:15], v[20:23], off,  sc0 sc1 // store D
	;; [unrolled: 2-line block ×4, first 2 shown]
s_mov_b64 exec, -1                                 // full mask -> exec
s_nop 0                                            // 1 wait state required when next inst writes vgprs held by previous dwordx4 store inst
/* optSingleColVgpr=0 optSharedColVgpr=0 optSGPRUsage=None optSrdIncForRow=0 */
s_sleep 5 // optimization: sync and wait
s_barrier

/******************************************/
/* Global Write Alpha Edge Batch #5 (d1,d0,vc1,vc0) = */
/*    (2,4,0,0:vw2); (2,5,0,0:vw2); (2,6,0,0:vw2); (2,7,0,0:vw2) */
/******************************************/

/* calc coords, apply mask, and issue loads (if necessary) */
/* (d1,vc1,d0,vc0)=(2,0,4,0) */
s_mov_b32 s46, 512                                 // coordOffset0 d0=4 vc0=0
_v_add_co_u32 v6, vcc, v0, s46                     // coord0.2: coord0 += d0*sg0*VW + vc0
GLOBAL_OFFSET_D 12, 6, 1, sgprWorkGroup2, 8
v_mov_b32 v8, v12                                  // temp store offset 0
v_mov_b32 v9, v13                                  // temp store offset 1
v_cmp_lt_u32 s[46:47], v6, s[sgprSizesFree+0]      // coord0 < size0
v_cmp_lt_u32 s[48:49], v1, s[sgprSizesFree+1]      // coord1 < size1
s_and_b64 s[50:51], s[46:47], s[48:49]             // in0 && in1
_v_add_co_u32 v12, vcc, v2, v8                     // addrVgpr = D + index*bytes (lo)
_v_addc_co_u32 v13, vcc, v3, v9, vcc               // addrVgpr = D + index*bytes (hi)
/* (d1,vc1,d0,vc0)=(2,0,5,0) */
s_mov_b32 s46, 640                                 // coordOffset0 d0=5 vc0=0
_v_add_co_u32 v6, vcc, v0, s46                     // coord0.2: coord0 += d0*sg0*VW + vc0
GLOBAL_OFFSET_D 14, 6, 1, sgprWorkGroup2, 8
v_mov_b32 v8, v14                                  // temp store offset 0
v_mov_b32 v9, v15                                  // temp store offset 1
v_cmp_lt_u32 s[46:47], v6, s[sgprSizesFree+0]      // coord0 < size0
v_cmp_lt_u32 s[48:49], v1, s[sgprSizesFree+1]      // coord1 < size1
s_and_b64 s[52:53], s[46:47], s[48:49]             // in0 && in1
_v_add_co_u32 v14, vcc, v2, v8                     // addrVgpr = D + index*bytes (lo)
_v_addc_co_u32 v15, vcc, v3, v9, vcc               // addrVgpr = D + index*bytes (hi)
	;; [unrolled: 11-line block ×4, first 2 shown]
v_accvgpr_read_b32 v[vgprValuC+16], acc68 // copy acc to vreg[80]
v_accvgpr_read_b32 v[vgprValuC+17], acc69 // copy acc to vreg[81]
v_accvgpr_read_b32 v[vgprValuC+18], acc76 // copy acc to vreg[82]
v_accvgpr_read_b32 v[vgprValuC+19], acc77 // copy acc to vreg[83]
v_accvgpr_read_b32 v[vgprValuC+20], acc84 // copy acc to vreg[84]
v_accvgpr_read_b32 v[vgprValuC+21], acc85 // copy acc to vreg[85]
v_accvgpr_read_b32 v[vgprValuC+22], acc92 // copy acc to vreg[86]
v_accvgpr_read_b32 v[vgprValuC+23], acc93 // copy acc to vreg[87]
v_accvgpr_read_b32 v[vgprValuC+28], acc100 // copy acc to vreg[88]
v_accvgpr_read_b32 v[vgprValuC+29], acc101 // copy acc to vreg[89]
v_accvgpr_read_b32 v[vgprValuC+30], acc108 // copy acc to vreg[90]
v_accvgpr_read_b32 v[vgprValuC+31], acc109 // copy acc to vreg[91]
v_accvgpr_read_b32 v[vgprValuC+32], acc116 // copy acc to vreg[92]
v_accvgpr_read_b32 v[vgprValuC+33], acc117 // copy acc to vreg[93]
v_accvgpr_read_b32 v[vgprValuC+34], acc124 // copy acc to vreg[94]
v_accvgpr_read_b32 v[vgprValuC+35], acc125 // copy acc to vreg[95]
s_nop 1                                            // 2 wait states required before reading vgpr

/* rC *= alpha batchElements=[(2, 4, 0, 0), (2, 5, 0, 0), (2, 6, 0, 0), (2, 7, 0, 0)] */
v_mul_f64 v[vgprValuC+16:vgprValuC+16+1], s[sgprAlpha:sgprAlpha+1], v[vgprValuC+16:vgprValuC+16+1] // *= alpha
v_mul_f64 v[vgprValuC+18:vgprValuC+18+1], s[sgprAlpha:sgprAlpha+1], v[vgprValuC+18:vgprValuC+18+1] // *= alpha
	;; [unrolled: 1-line block ×8, first 2 shown]

/* apply mask, calc new C and issue writes */
s_mov_b64 exec, s[50:51]                           // sgprs -> exec
_global_store_b128 v[12:13], v[16:19], off,  sc0 sc1 // store D
s_mov_b64 exec, s[52:53]                           // sgprs -> exec
_global_store_b128 v[14:15], v[20:23], off,  sc0 sc1 // store D
	;; [unrolled: 2-line block ×4, first 2 shown]
s_mov_b64 exec, -1                                 // full mask -> exec
s_nop 0                                            // 1 wait state required when next inst writes vgprs held by previous dwordx4 store inst
/* optSingleColVgpr=0 optSharedColVgpr=0 optSGPRUsage=None optSrdIncForRow=0 */
s_sleep 5 // optimization: sync and wait
s_barrier

/******************************************/
/* Global Write Alpha Edge Batch #6 (d1,d0,vc1,vc0) = */
/*    (3,0,0,0:vw2); (3,1,0,0:vw2); (3,2,0,0:vw2); (3,3,0,0:vw2) */
/******************************************/

/* calc coords, apply mask, and issue loads (if necessary) */
/* (d1,vc1,d0,vc0)=(3,0,0,0) */
_v_add_co_u32 v1, vcc, v1, 4                       // coord1.1: coord1Vgpr += d1*sg1*VW + vc1
GLOBAL_OFFSET_D 12, 0, 1, sgprWorkGroup2, 8
v_mov_b32 v8, v12                                  // temp store offset 0
v_mov_b32 v9, v13                                  // temp store offset 1
v_cmp_lt_u32 s[46:47], v0, s[sgprSizesFree+0]      // coord0 < size0
v_cmp_lt_u32 s[48:49], v1, s[sgprSizesFree+1]      // coord1 < size1
s_and_b64 s[50:51], s[46:47], s[48:49]             // in0 && in1
_v_add_co_u32 v12, vcc, v2, v8                     // addrVgpr = D + index*bytes (lo)
_v_addc_co_u32 v13, vcc, v3, v9, vcc               // addrVgpr = D + index*bytes (hi)
/* (d1,vc1,d0,vc0)=(3,0,1,0) */
s_mov_b32 s46, 128                                 // coordOffset0 d0=1 vc0=0
_v_add_co_u32 v6, vcc, v0, s46                     // coord0.2: coord0 += d0*sg0*VW + vc0
GLOBAL_OFFSET_D 14, 6, 1, sgprWorkGroup2, 8
v_mov_b32 v8, v14                                  // temp store offset 0
v_mov_b32 v9, v15                                  // temp store offset 1
v_cmp_lt_u32 s[46:47], v6, s[sgprSizesFree+0]      // coord0 < size0
v_cmp_lt_u32 s[48:49], v1, s[sgprSizesFree+1]      // coord1 < size1
s_and_b64 s[52:53], s[46:47], s[48:49]             // in0 && in1
_v_add_co_u32 v14, vcc, v2, v8                     // addrVgpr = D + index*bytes (lo)
_v_addc_co_u32 v15, vcc, v3, v9, vcc               // addrVgpr = D + index*bytes (hi)
/* (d1,vc1,d0,vc0)=(3,0,2,0) */
s_mov_b32 s46, 256                                 // coordOffset0 d0=2 vc0=0
_v_add_co_u32 v6, vcc, v0, s46                     // coord0.2: coord0 += d0*sg0*VW + vc0
	;; [unrolled: 11-line block ×3, first 2 shown]
GLOBAL_OFFSET_D 26, 6, 1, sgprWorkGroup2, 8
v_mov_b32 v8, v26                                  // temp store offset 0
v_mov_b32 v9, v27                                  // temp store offset 1
v_cmp_lt_u32 s[46:47], v6, s[sgprSizesFree+0]      // coord0 < size0
v_cmp_lt_u32 s[48:49], v1, s[sgprSizesFree+1]      // coord1 < size1
s_and_b64 s[56:57], s[46:47], s[48:49]             // in0 && in1
_v_add_co_u32 v26, vcc, v2, v8                     // addrVgpr = D + index*bytes (lo)
_v_addc_co_u32 v27, vcc, v3, v9, vcc               // addrVgpr = D + index*bytes (hi)
v_accvgpr_read_b32 v[vgprValuC+16], acc6 // copy acc to vreg[96]
v_accvgpr_read_b32 v[vgprValuC+17], acc7 // copy acc to vreg[97]
v_accvgpr_read_b32 v[vgprValuC+18], acc14 // copy acc to vreg[98]
v_accvgpr_read_b32 v[vgprValuC+19], acc15 // copy acc to vreg[99]
v_accvgpr_read_b32 v[vgprValuC+20], acc22 // copy acc to vreg[100]
v_accvgpr_read_b32 v[vgprValuC+21], acc23 // copy acc to vreg[101]
v_accvgpr_read_b32 v[vgprValuC+22], acc30 // copy acc to vreg[102]
v_accvgpr_read_b32 v[vgprValuC+23], acc31 // copy acc to vreg[103]
v_accvgpr_read_b32 v[vgprValuC+28], acc38 // copy acc to vreg[104]
v_accvgpr_read_b32 v[vgprValuC+29], acc39 // copy acc to vreg[105]
v_accvgpr_read_b32 v[vgprValuC+30], acc46 // copy acc to vreg[106]
v_accvgpr_read_b32 v[vgprValuC+31], acc47 // copy acc to vreg[107]
v_accvgpr_read_b32 v[vgprValuC+32], acc54 // copy acc to vreg[108]
v_accvgpr_read_b32 v[vgprValuC+33], acc55 // copy acc to vreg[109]
v_accvgpr_read_b32 v[vgprValuC+34], acc62 // copy acc to vreg[110]
v_accvgpr_read_b32 v[vgprValuC+35], acc63 // copy acc to vreg[111]
s_nop 1                                            // 2 wait states required before reading vgpr

/* rC *= alpha batchElements=[(3, 0, 0, 0), (3, 1, 0, 0), (3, 2, 0, 0), (3, 3, 0, 0)] */
v_mul_f64 v[vgprValuC+16:vgprValuC+16+1], s[sgprAlpha:sgprAlpha+1], v[vgprValuC+16:vgprValuC+16+1] // *= alpha
v_mul_f64 v[vgprValuC+18:vgprValuC+18+1], s[sgprAlpha:sgprAlpha+1], v[vgprValuC+18:vgprValuC+18+1] // *= alpha
	;; [unrolled: 1-line block ×8, first 2 shown]

/* apply mask, calc new C and issue writes */
s_mov_b64 exec, s[50:51]                           // sgprs -> exec
_global_store_b128 v[12:13], v[16:19], off,  sc0 sc1 // store D
s_mov_b64 exec, s[52:53]                           // sgprs -> exec
_global_store_b128 v[14:15], v[20:23], off,  sc0 sc1 // store D
	;; [unrolled: 2-line block ×4, first 2 shown]
s_mov_b64 exec, -1                                 // full mask -> exec
s_nop 0                                            // 1 wait state required when next inst writes vgprs held by previous dwordx4 store inst
/* optSingleColVgpr=0 optSharedColVgpr=0 optSGPRUsage=None optSrdIncForRow=0 */
s_sleep 5 // optimization: sync and wait
s_barrier

/******************************************/
/* Global Write Alpha Edge Batch #7 (d1,d0,vc1,vc0) = */
/*    (3,4,0,0:vw2); (3,5,0,0:vw2); (3,6,0,0:vw2); (3,7,0,0:vw2) */
/******************************************/

/* calc coords, apply mask, and issue loads (if necessary) */
/* (d1,vc1,d0,vc0)=(3,0,4,0) */
s_mov_b32 s46, 512                                 // coordOffset0 d0=4 vc0=0
_v_add_co_u32 v6, vcc, v0, s46                     // coord0.2: coord0 += d0*sg0*VW + vc0
GLOBAL_OFFSET_D 12, 6, 1, sgprWorkGroup2, 8
v_mov_b32 v8, v12                                  // temp store offset 0
v_mov_b32 v9, v13                                  // temp store offset 1
v_cmp_lt_u32 s[46:47], v6, s[sgprSizesFree+0]      // coord0 < size0
v_cmp_lt_u32 s[48:49], v1, s[sgprSizesFree+1]      // coord1 < size1
s_and_b64 s[50:51], s[46:47], s[48:49]             // in0 && in1
_v_add_co_u32 v12, vcc, v2, v8                     // addrVgpr = D + index*bytes (lo)
_v_addc_co_u32 v13, vcc, v3, v9, vcc               // addrVgpr = D + index*bytes (hi)
/* (d1,vc1,d0,vc0)=(3,0,5,0) */
s_mov_b32 s46, 640                                 // coordOffset0 d0=5 vc0=0
_v_add_co_u32 v6, vcc, v0, s46                     // coord0.2: coord0 += d0*sg0*VW + vc0
GLOBAL_OFFSET_D 14, 6, 1, sgprWorkGroup2, 8
v_mov_b32 v8, v14                                  // temp store offset 0
v_mov_b32 v9, v15                                  // temp store offset 1
v_cmp_lt_u32 s[46:47], v6, s[sgprSizesFree+0]      // coord0 < size0
v_cmp_lt_u32 s[48:49], v1, s[sgprSizesFree+1]      // coord1 < size1
s_and_b64 s[52:53], s[46:47], s[48:49]             // in0 && in1
_v_add_co_u32 v14, vcc, v2, v8                     // addrVgpr = D + index*bytes (lo)
_v_addc_co_u32 v15, vcc, v3, v9, vcc               // addrVgpr = D + index*bytes (hi)
	;; [unrolled: 11-line block ×4, first 2 shown]
v_accvgpr_read_b32 v[vgprValuC+16], acc70 // copy acc to vreg[112]
v_accvgpr_read_b32 v[vgprValuC+17], acc71 // copy acc to vreg[113]
v_accvgpr_read_b32 v[vgprValuC+18], acc78 // copy acc to vreg[114]
v_accvgpr_read_b32 v[vgprValuC+19], acc79 // copy acc to vreg[115]
v_accvgpr_read_b32 v[vgprValuC+20], acc86 // copy acc to vreg[116]
v_accvgpr_read_b32 v[vgprValuC+21], acc87 // copy acc to vreg[117]
v_accvgpr_read_b32 v[vgprValuC+22], acc94 // copy acc to vreg[118]
v_accvgpr_read_b32 v[vgprValuC+23], acc95 // copy acc to vreg[119]
v_accvgpr_read_b32 v[vgprValuC+28], acc102 // copy acc to vreg[120]
v_accvgpr_read_b32 v[vgprValuC+29], acc103 // copy acc to vreg[121]
v_accvgpr_read_b32 v[vgprValuC+30], acc110 // copy acc to vreg[122]
v_accvgpr_read_b32 v[vgprValuC+31], acc111 // copy acc to vreg[123]
v_accvgpr_read_b32 v[vgprValuC+32], acc118 // copy acc to vreg[124]
v_accvgpr_read_b32 v[vgprValuC+33], acc119 // copy acc to vreg[125]
v_accvgpr_read_b32 v[vgprValuC+34], acc126 // copy acc to vreg[126]
v_accvgpr_read_b32 v[vgprValuC+35], acc127 // copy acc to vreg[127]
s_nop 1                                            // 2 wait states required before reading vgpr

/* rC *= alpha batchElements=[(3, 4, 0, 0), (3, 5, 0, 0), (3, 6, 0, 0), (3, 7, 0, 0)] */
v_mul_f64 v[vgprValuC+16:vgprValuC+16+1], s[sgprAlpha:sgprAlpha+1], v[vgprValuC+16:vgprValuC+16+1] // *= alpha
v_mul_f64 v[vgprValuC+18:vgprValuC+18+1], s[sgprAlpha:sgprAlpha+1], v[vgprValuC+18:vgprValuC+18+1] // *= alpha
	;; [unrolled: 1-line block ×8, first 2 shown]

/* apply mask, calc new C and issue writes */
s_mov_b64 exec, s[50:51]                           // sgprs -> exec
_global_store_b128 v[12:13], v[16:19], off,  sc0 sc1 // store D
s_mov_b64 exec, s[52:53]                           // sgprs -> exec
_global_store_b128 v[14:15], v[20:23], off,  sc0 sc1 // store D
	;; [unrolled: 2-line block ×4, first 2 shown]
s_mov_b64 exec, -1                                 // full mask -> exec
s_nop 0                                            // 1 wait state required when next inst writes vgprs held by previous dwordx4 store inst
s_branch label_GW_End_37                           // jump to end
GW_Beta_38:
s_and_b32 s46, 1023, s[sgprSizeI]                  // s46 = s[sgprSizeI] % 1024
s_add_u32 s47, -0x1, s[sgprNumWorkGroups0]         // 
s_cmp_ge_u32 s[sgprWorkGroup0], s47                // wg0 >= nwg0-1 ?
s_cselect_b32 s46, s46, 0                          // set rMT0
s_cmpk_gt_u32 s46, 0x0                             // rMT0 > 0
s_cbranch_scc1 GW_B1_E1_36                         // jump if edges required
s_and_b32 s46, 15, s[sgprSizeJ]                    // s46 = s[sgprSizeJ] % 16
s_add_u32 s47, -0x1, s[sgprNumWorkGroups1]         // 
s_cmp_ge_u32 s[sgprWorkGroup1], s47                // wg1 >= nwg1-1
s_cselect_b32 s46, s46, 0                          // set rMT1
s_cmpk_gt_u32 s46, 0x0                             // rMT1 > 0
s_cbranch_scc1 GW_B1_E1_36                         // jump if edges required
GW_B1_E0_33:

/* edge=0, allocate 12 sgpr. perBatchTmpS=4 perBatchMaskS=0 perElementMaskS=2 elementsPerBatch=4 */
/* optSingleColVgpr=0 optSharedColVgpr=0 optSGPRUsage=None optSrdIncForRow=0 */
s_sleep 5 // optimization: sync and wait
s_barrier

/******************************************/
/* Global Write Alpha Beta Batch #0 (d1,d0,vc1,vc0) = */
/*    (0,0,0,0:vw2); (0,1,0,0:vw2); (0,2,0,0:vw2); (0,3,0,0:vw2) */
/******************************************/

/* calc coords, apply mask, and issue loads (if necessary) */
/* (d1,vc1,d0,vc0)=(0,0,0,0) */
GLOBAL_OFFSET_C 12, 0, 1, sgprWorkGroup2, 8
v_mov_b32 v8, v12                                  // temp store offset 0
v_mov_b32 v9, v13                                  // temp store offset 1
_v_add_co_u32 v12, vcc, v4, v8                     // addrVgpr = C + index*bytes (lo)
_v_addc_co_u32 v13, vcc, v5, v9, vcc               // addrVgpr = C + index*bytes (hi)
_global_load_b128 v[16:19], v[12:13], off, offset:0,  sc0 sc1 // load C for beta calc
GLOBAL_OFFSET_D 12, 0, 1, sgprWorkGroup2, 8
v_mov_b32 v8, v12                                  // temp store offset 0
v_mov_b32 v9, v13                                  // temp store offset 1
_v_add_co_u32 v12, vcc, v2, v8                     // addrVgpr = D + index*bytes (lo)
_v_addc_co_u32 v13, vcc, v3, v9, vcc               // addrVgpr = D + index*bytes (hi)
/* (d1,vc1,d0,vc0)=(0,0,1,0) */
s_mov_b32 s46, 128                                 // coordOffset0 d0=1 vc0=0
_v_add_co_u32 v6, vcc, v0, s46                     // coord0.2: coord0 += d0*sg0*VW + vc0
GLOBAL_OFFSET_C 14, 6, 1, sgprWorkGroup2, 8
v_mov_b32 v8, v14                                  // temp store offset 0
v_mov_b32 v9, v15                                  // temp store offset 1
_v_add_co_u32 v14, vcc, v4, v8                     // addrVgpr = C + index*bytes (lo)
_v_addc_co_u32 v15, vcc, v5, v9, vcc               // addrVgpr = C + index*bytes (hi)
_global_load_b128 v[24:27], v[14:15], off, offset:0,  sc0 sc1 // load C for beta calc
GLOBAL_OFFSET_D 14, 6, 1, sgprWorkGroup2, 8
v_mov_b32 v8, v14                                  // temp store offset 0
v_mov_b32 v9, v15                                  // temp store offset 1
_v_add_co_u32 v14, vcc, v2, v8                     // addrVgpr = D + index*bytes (lo)
_v_addc_co_u32 v15, vcc, v3, v9, vcc               // addrVgpr = D + index*bytes (hi)
/* (d1,vc1,d0,vc0)=(0,0,2,0) */
s_mov_b32 s46, 256                                 // coordOffset0 d0=2 vc0=0
_v_add_co_u32 v6, vcc, v0, s46                     // coord0.2: coord0 += d0*sg0*VW + vc0
	;; [unrolled: 14-line block ×3, first 2 shown]
GLOBAL_OFFSET_C 34, 6, 1, sgprWorkGroup2, 8
v_mov_b32 v8, v34                                  // temp store offset 0
v_mov_b32 v9, v35                                  // temp store offset 1
_v_add_co_u32 v34, vcc, v4, v8                     // addrVgpr = C + index*bytes (lo)
_v_addc_co_u32 v35, vcc, v5, v9, vcc               // addrVgpr = C + index*bytes (hi)
_global_load_b128 v[44:47], v[34:35], off, offset:0,  sc0 sc1 // load C for beta calc
GLOBAL_OFFSET_D 34, 6, 1, sgprWorkGroup2, 8
v_mov_b32 v8, v34                                  // temp store offset 0
v_mov_b32 v9, v35                                  // temp store offset 1
_v_add_co_u32 v34, vcc, v2, v8                     // addrVgpr = D + index*bytes (lo)
_v_addc_co_u32 v35, vcc, v3, v9, vcc               // addrVgpr = D + index*bytes (hi)
s_sleep 5 // optimization: sync and wait
s_barrier
v_accvgpr_read_b32 v[vgprValuC+20], acc0 // copy acc to vreg[0]
v_accvgpr_read_b32 v[vgprValuC+21], acc1 // copy acc to vreg[1]
v_accvgpr_read_b32 v[vgprValuC+22], acc8 // copy acc to vreg[2]
v_accvgpr_read_b32 v[vgprValuC+23], acc9 // copy acc to vreg[3]
v_accvgpr_read_b32 v[vgprValuC+28], acc16 // copy acc to vreg[4]
v_accvgpr_read_b32 v[vgprValuC+29], acc17 // copy acc to vreg[5]
v_accvgpr_read_b32 v[vgprValuC+30], acc24 // copy acc to vreg[6]
v_accvgpr_read_b32 v[vgprValuC+31], acc25 // copy acc to vreg[7]
v_accvgpr_read_b32 v[vgprValuC+40], acc32 // copy acc to vreg[8]
v_accvgpr_read_b32 v[vgprValuC+41], acc33 // copy acc to vreg[9]
v_accvgpr_read_b32 v[vgprValuC+42], acc40 // copy acc to vreg[10]
v_accvgpr_read_b32 v[vgprValuC+43], acc41 // copy acc to vreg[11]
v_accvgpr_read_b32 v[vgprValuC+48], acc48 // copy acc to vreg[12]
v_accvgpr_read_b32 v[vgprValuC+49], acc49 // copy acc to vreg[13]
v_accvgpr_read_b32 v[vgprValuC+50], acc56 // copy acc to vreg[14]
v_accvgpr_read_b32 v[vgprValuC+51], acc57 // copy acc to vreg[15]
s_nop 1                                            // 2 wait states required before reading vgpr

/* rC *= alpha batchElements=[(0, 0, 0, 0), (0, 1, 0, 0), (0, 2, 0, 0), (0, 3, 0, 0)] */
v_mul_f64 v[vgprValuC+20:vgprValuC+20+1], s[sgprAlpha:sgprAlpha+1], v[vgprValuC+20:vgprValuC+20+1] // *= alpha
v_mul_f64 v[vgprValuC+22:vgprValuC+22+1], s[sgprAlpha:sgprAlpha+1], v[vgprValuC+22:vgprValuC+22+1] // *= alpha
	;; [unrolled: 1-line block ×8, first 2 shown]
s_waitcnt vmcnt(0)                                 // wait C

/* apply mask, calc new C and issue writes */
v_fma_f64 v[vgprValuC+20:vgprValuC+20+1], v[16:17], s[sgprBeta:sgprBeta+1], v[vgprValuC+20:vgprValuC+20+1] // finalSum = sum*alpha + C*beta
v_fma_f64 v[vgprValuC+22:vgprValuC+22+1], v[18:19], s[sgprBeta:sgprBeta+1], v[vgprValuC+22:vgprValuC+22+1] // finalSum = sum*alpha + C*beta
_global_store_b128 v[12:13], v[20:23], off,  sc0 sc1 // store D
v_fma_f64 v[vgprValuC+28:vgprValuC+28+1], v[24:25], s[sgprBeta:sgprBeta+1], v[vgprValuC+28:vgprValuC+28+1] // finalSum = sum*alpha + C*beta
v_fma_f64 v[vgprValuC+30:vgprValuC+30+1], v[26:27], s[sgprBeta:sgprBeta+1], v[vgprValuC+30:vgprValuC+30+1] // finalSum = sum*alpha + C*beta
_global_store_b128 v[14:15], v[28:31], off,  sc0 sc1 // store D
	;; [unrolled: 3-line block ×4, first 2 shown]
s_nop 0                                            // 1 wait state required when next inst writes vgprs held by previous dwordx4 store inst
/* optSingleColVgpr=0 optSharedColVgpr=0 optSGPRUsage=None optSrdIncForRow=0 */
s_sleep 5 // optimization: sync and wait
s_barrier

/******************************************/
/* Global Write Alpha Beta Batch #1 (d1,d0,vc1,vc0) = */
/*    (0,4,0,0:vw2); (0,5,0,0:vw2); (0,6,0,0:vw2); (0,7,0,0:vw2) */
/******************************************/

/* calc coords, apply mask, and issue loads (if necessary) */
/* (d1,vc1,d0,vc0)=(0,0,4,0) */
s_mov_b32 s46, 512                                 // coordOffset0 d0=4 vc0=0
_v_add_co_u32 v6, vcc, v0, s46                     // coord0.2: coord0 += d0*sg0*VW + vc0
GLOBAL_OFFSET_C 12, 6, 1, sgprWorkGroup2, 8
v_mov_b32 v8, v12                                  // temp store offset 0
v_mov_b32 v9, v13                                  // temp store offset 1
_v_add_co_u32 v12, vcc, v4, v8                     // addrVgpr = C + index*bytes (lo)
_v_addc_co_u32 v13, vcc, v5, v9, vcc               // addrVgpr = C + index*bytes (hi)
_global_load_b128 v[16:19], v[12:13], off, offset:0,  sc0 sc1 // load C for beta calc
GLOBAL_OFFSET_D 12, 6, 1, sgprWorkGroup2, 8
v_mov_b32 v8, v12                                  // temp store offset 0
v_mov_b32 v9, v13                                  // temp store offset 1
_v_add_co_u32 v12, vcc, v2, v8                     // addrVgpr = D + index*bytes (lo)
_v_addc_co_u32 v13, vcc, v3, v9, vcc               // addrVgpr = D + index*bytes (hi)
/* (d1,vc1,d0,vc0)=(0,0,5,0) */
s_mov_b32 s46, 640                                 // coordOffset0 d0=5 vc0=0
_v_add_co_u32 v6, vcc, v0, s46                     // coord0.2: coord0 += d0*sg0*VW + vc0
GLOBAL_OFFSET_C 14, 6, 1, sgprWorkGroup2, 8
v_mov_b32 v8, v14                                  // temp store offset 0
v_mov_b32 v9, v15                                  // temp store offset 1
_v_add_co_u32 v14, vcc, v4, v8                     // addrVgpr = C + index*bytes (lo)
_v_addc_co_u32 v15, vcc, v5, v9, vcc               // addrVgpr = C + index*bytes (hi)
_global_load_b128 v[24:27], v[14:15], off, offset:0,  sc0 sc1 // load C for beta calc
GLOBAL_OFFSET_D 14, 6, 1, sgprWorkGroup2, 8
v_mov_b32 v8, v14                                  // temp store offset 0
v_mov_b32 v9, v15                                  // temp store offset 1
_v_add_co_u32 v14, vcc, v2, v8                     // addrVgpr = D + index*bytes (lo)
_v_addc_co_u32 v15, vcc, v3, v9, vcc               // addrVgpr = D + index*bytes (hi)
	;; [unrolled: 14-line block ×4, first 2 shown]
s_sleep 5 // optimization: sync and wait
s_barrier
v_accvgpr_read_b32 v[vgprValuC+20], acc64 // copy acc to vreg[16]
v_accvgpr_read_b32 v[vgprValuC+21], acc65 // copy acc to vreg[17]
v_accvgpr_read_b32 v[vgprValuC+22], acc72 // copy acc to vreg[18]
v_accvgpr_read_b32 v[vgprValuC+23], acc73 // copy acc to vreg[19]
v_accvgpr_read_b32 v[vgprValuC+28], acc80 // copy acc to vreg[20]
v_accvgpr_read_b32 v[vgprValuC+29], acc81 // copy acc to vreg[21]
v_accvgpr_read_b32 v[vgprValuC+30], acc88 // copy acc to vreg[22]
v_accvgpr_read_b32 v[vgprValuC+31], acc89 // copy acc to vreg[23]
v_accvgpr_read_b32 v[vgprValuC+40], acc96 // copy acc to vreg[24]
v_accvgpr_read_b32 v[vgprValuC+41], acc97 // copy acc to vreg[25]
v_accvgpr_read_b32 v[vgprValuC+42], acc104 // copy acc to vreg[26]
v_accvgpr_read_b32 v[vgprValuC+43], acc105 // copy acc to vreg[27]
v_accvgpr_read_b32 v[vgprValuC+48], acc112 // copy acc to vreg[28]
v_accvgpr_read_b32 v[vgprValuC+49], acc113 // copy acc to vreg[29]
v_accvgpr_read_b32 v[vgprValuC+50], acc120 // copy acc to vreg[30]
v_accvgpr_read_b32 v[vgprValuC+51], acc121 // copy acc to vreg[31]
s_nop 1                                            // 2 wait states required before reading vgpr

/* rC *= alpha batchElements=[(0, 4, 0, 0), (0, 5, 0, 0), (0, 6, 0, 0), (0, 7, 0, 0)] */
v_mul_f64 v[vgprValuC+20:vgprValuC+20+1], s[sgprAlpha:sgprAlpha+1], v[vgprValuC+20:vgprValuC+20+1] // *= alpha
v_mul_f64 v[vgprValuC+22:vgprValuC+22+1], s[sgprAlpha:sgprAlpha+1], v[vgprValuC+22:vgprValuC+22+1] // *= alpha
v_mul_f64 v[vgprValuC+28:vgprValuC+28+1], s[sgprAlpha:sgprAlpha+1], v[vgprValuC+28:vgprValuC+28+1] // *= alpha
v_mul_f64 v[vgprValuC+30:vgprValuC+30+1], s[sgprAlpha:sgprAlpha+1], v[vgprValuC+30:vgprValuC+30+1] // *= alpha
v_mul_f64 v[vgprValuC+40:vgprValuC+40+1], s[sgprAlpha:sgprAlpha+1], v[vgprValuC+40:vgprValuC+40+1] // *= alpha
v_mul_f64 v[vgprValuC+42:vgprValuC+42+1], s[sgprAlpha:sgprAlpha+1], v[vgprValuC+42:vgprValuC+42+1] // *= alpha
v_mul_f64 v[vgprValuC+48:vgprValuC+48+1], s[sgprAlpha:sgprAlpha+1], v[vgprValuC+48:vgprValuC+48+1] // *= alpha
v_mul_f64 v[vgprValuC+50:vgprValuC+50+1], s[sgprAlpha:sgprAlpha+1], v[vgprValuC+50:vgprValuC+50+1] // *= alpha
s_waitcnt vmcnt(0)                                 // wait C

/* apply mask, calc new C and issue writes */
v_fma_f64 v[vgprValuC+20:vgprValuC+20+1], v[16:17], s[sgprBeta:sgprBeta+1], v[vgprValuC+20:vgprValuC+20+1] // finalSum = sum*alpha + C*beta
v_fma_f64 v[vgprValuC+22:vgprValuC+22+1], v[18:19], s[sgprBeta:sgprBeta+1], v[vgprValuC+22:vgprValuC+22+1] // finalSum = sum*alpha + C*beta
_global_store_b128 v[12:13], v[20:23], off,  sc0 sc1 // store D
v_fma_f64 v[vgprValuC+28:vgprValuC+28+1], v[24:25], s[sgprBeta:sgprBeta+1], v[vgprValuC+28:vgprValuC+28+1] // finalSum = sum*alpha + C*beta
v_fma_f64 v[vgprValuC+30:vgprValuC+30+1], v[26:27], s[sgprBeta:sgprBeta+1], v[vgprValuC+30:vgprValuC+30+1] // finalSum = sum*alpha + C*beta
_global_store_b128 v[14:15], v[28:31], off,  sc0 sc1 // store D
	;; [unrolled: 3-line block ×4, first 2 shown]
s_nop 0                                            // 1 wait state required when next inst writes vgprs held by previous dwordx4 store inst
/* optSingleColVgpr=0 optSharedColVgpr=0 optSGPRUsage=None optSrdIncForRow=0 */
s_sleep 5 // optimization: sync and wait
s_barrier

/******************************************/
/* Global Write Alpha Beta Batch #2 (d1,d0,vc1,vc0) = */
/*    (1,0,0,0:vw2); (1,1,0,0:vw2); (1,2,0,0:vw2); (1,3,0,0:vw2) */
/******************************************/

/* calc coords, apply mask, and issue loads (if necessary) */
/* (d1,vc1,d0,vc0)=(1,0,0,0) */
_v_add_co_u32 v1, vcc, v1, 4                       // coord1.1: coord1Vgpr += d1*sg1*VW + vc1
GLOBAL_OFFSET_C 12, 0, 1, sgprWorkGroup2, 8
v_mov_b32 v8, v12                                  // temp store offset 0
v_mov_b32 v9, v13                                  // temp store offset 1
_v_add_co_u32 v12, vcc, v4, v8                     // addrVgpr = C + index*bytes (lo)
_v_addc_co_u32 v13, vcc, v5, v9, vcc               // addrVgpr = C + index*bytes (hi)
_global_load_b128 v[16:19], v[12:13], off, offset:0,  sc0 sc1 // load C for beta calc
GLOBAL_OFFSET_D 12, 0, 1, sgprWorkGroup2, 8
v_mov_b32 v8, v12                                  // temp store offset 0
v_mov_b32 v9, v13                                  // temp store offset 1
_v_add_co_u32 v12, vcc, v2, v8                     // addrVgpr = D + index*bytes (lo)
_v_addc_co_u32 v13, vcc, v3, v9, vcc               // addrVgpr = D + index*bytes (hi)
/* (d1,vc1,d0,vc0)=(1,0,1,0) */
s_mov_b32 s46, 128                                 // coordOffset0 d0=1 vc0=0
_v_add_co_u32 v6, vcc, v0, s46                     // coord0.2: coord0 += d0*sg0*VW + vc0
GLOBAL_OFFSET_C 14, 6, 1, sgprWorkGroup2, 8
v_mov_b32 v8, v14                                  // temp store offset 0
v_mov_b32 v9, v15                                  // temp store offset 1
_v_add_co_u32 v14, vcc, v4, v8                     // addrVgpr = C + index*bytes (lo)
_v_addc_co_u32 v15, vcc, v5, v9, vcc               // addrVgpr = C + index*bytes (hi)
_global_load_b128 v[24:27], v[14:15], off, offset:0,  sc0 sc1 // load C for beta calc
GLOBAL_OFFSET_D 14, 6, 1, sgprWorkGroup2, 8
v_mov_b32 v8, v14                                  // temp store offset 0
v_mov_b32 v9, v15                                  // temp store offset 1
_v_add_co_u32 v14, vcc, v2, v8                     // addrVgpr = D + index*bytes (lo)
_v_addc_co_u32 v15, vcc, v3, v9, vcc               // addrVgpr = D + index*bytes (hi)
/* (d1,vc1,d0,vc0)=(1,0,2,0) */
s_mov_b32 s46, 256                                 // coordOffset0 d0=2 vc0=0
_v_add_co_u32 v6, vcc, v0, s46                     // coord0.2: coord0 += d0*sg0*VW + vc0
	;; [unrolled: 14-line block ×3, first 2 shown]
GLOBAL_OFFSET_C 34, 6, 1, sgprWorkGroup2, 8
v_mov_b32 v8, v34                                  // temp store offset 0
v_mov_b32 v9, v35                                  // temp store offset 1
_v_add_co_u32 v34, vcc, v4, v8                     // addrVgpr = C + index*bytes (lo)
_v_addc_co_u32 v35, vcc, v5, v9, vcc               // addrVgpr = C + index*bytes (hi)
_global_load_b128 v[44:47], v[34:35], off, offset:0,  sc0 sc1 // load C for beta calc
GLOBAL_OFFSET_D 34, 6, 1, sgprWorkGroup2, 8
v_mov_b32 v8, v34                                  // temp store offset 0
v_mov_b32 v9, v35                                  // temp store offset 1
_v_add_co_u32 v34, vcc, v2, v8                     // addrVgpr = D + index*bytes (lo)
_v_addc_co_u32 v35, vcc, v3, v9, vcc               // addrVgpr = D + index*bytes (hi)
s_sleep 5 // optimization: sync and wait
s_barrier
v_accvgpr_read_b32 v[vgprValuC+20], acc2 // copy acc to vreg[32]
v_accvgpr_read_b32 v[vgprValuC+21], acc3 // copy acc to vreg[33]
v_accvgpr_read_b32 v[vgprValuC+22], acc10 // copy acc to vreg[34]
v_accvgpr_read_b32 v[vgprValuC+23], acc11 // copy acc to vreg[35]
v_accvgpr_read_b32 v[vgprValuC+28], acc18 // copy acc to vreg[36]
v_accvgpr_read_b32 v[vgprValuC+29], acc19 // copy acc to vreg[37]
v_accvgpr_read_b32 v[vgprValuC+30], acc26 // copy acc to vreg[38]
v_accvgpr_read_b32 v[vgprValuC+31], acc27 // copy acc to vreg[39]
v_accvgpr_read_b32 v[vgprValuC+40], acc34 // copy acc to vreg[40]
v_accvgpr_read_b32 v[vgprValuC+41], acc35 // copy acc to vreg[41]
v_accvgpr_read_b32 v[vgprValuC+42], acc42 // copy acc to vreg[42]
v_accvgpr_read_b32 v[vgprValuC+43], acc43 // copy acc to vreg[43]
v_accvgpr_read_b32 v[vgprValuC+48], acc50 // copy acc to vreg[44]
v_accvgpr_read_b32 v[vgprValuC+49], acc51 // copy acc to vreg[45]
v_accvgpr_read_b32 v[vgprValuC+50], acc58 // copy acc to vreg[46]
v_accvgpr_read_b32 v[vgprValuC+51], acc59 // copy acc to vreg[47]
s_nop 1                                            // 2 wait states required before reading vgpr

/* rC *= alpha batchElements=[(1, 0, 0, 0), (1, 1, 0, 0), (1, 2, 0, 0), (1, 3, 0, 0)] */
v_mul_f64 v[vgprValuC+20:vgprValuC+20+1], s[sgprAlpha:sgprAlpha+1], v[vgprValuC+20:vgprValuC+20+1] // *= alpha
v_mul_f64 v[vgprValuC+22:vgprValuC+22+1], s[sgprAlpha:sgprAlpha+1], v[vgprValuC+22:vgprValuC+22+1] // *= alpha
	;; [unrolled: 1-line block ×8, first 2 shown]
s_waitcnt vmcnt(0)                                 // wait C

/* apply mask, calc new C and issue writes */
v_fma_f64 v[vgprValuC+20:vgprValuC+20+1], v[16:17], s[sgprBeta:sgprBeta+1], v[vgprValuC+20:vgprValuC+20+1] // finalSum = sum*alpha + C*beta
v_fma_f64 v[vgprValuC+22:vgprValuC+22+1], v[18:19], s[sgprBeta:sgprBeta+1], v[vgprValuC+22:vgprValuC+22+1] // finalSum = sum*alpha + C*beta
_global_store_b128 v[12:13], v[20:23], off,  sc0 sc1 // store D
v_fma_f64 v[vgprValuC+28:vgprValuC+28+1], v[24:25], s[sgprBeta:sgprBeta+1], v[vgprValuC+28:vgprValuC+28+1] // finalSum = sum*alpha + C*beta
v_fma_f64 v[vgprValuC+30:vgprValuC+30+1], v[26:27], s[sgprBeta:sgprBeta+1], v[vgprValuC+30:vgprValuC+30+1] // finalSum = sum*alpha + C*beta
_global_store_b128 v[14:15], v[28:31], off,  sc0 sc1 // store D
	;; [unrolled: 3-line block ×4, first 2 shown]
s_nop 0                                            // 1 wait state required when next inst writes vgprs held by previous dwordx4 store inst
/* optSingleColVgpr=0 optSharedColVgpr=0 optSGPRUsage=None optSrdIncForRow=0 */
s_sleep 5 // optimization: sync and wait
s_barrier

/******************************************/
/* Global Write Alpha Beta Batch #3 (d1,d0,vc1,vc0) = */
/*    (1,4,0,0:vw2); (1,5,0,0:vw2); (1,6,0,0:vw2); (1,7,0,0:vw2) */
/******************************************/

/* calc coords, apply mask, and issue loads (if necessary) */
/* (d1,vc1,d0,vc0)=(1,0,4,0) */
s_mov_b32 s46, 512                                 // coordOffset0 d0=4 vc0=0
_v_add_co_u32 v6, vcc, v0, s46                     // coord0.2: coord0 += d0*sg0*VW + vc0
GLOBAL_OFFSET_C 12, 6, 1, sgprWorkGroup2, 8
v_mov_b32 v8, v12                                  // temp store offset 0
v_mov_b32 v9, v13                                  // temp store offset 1
_v_add_co_u32 v12, vcc, v4, v8                     // addrVgpr = C + index*bytes (lo)
_v_addc_co_u32 v13, vcc, v5, v9, vcc               // addrVgpr = C + index*bytes (hi)
_global_load_b128 v[16:19], v[12:13], off, offset:0,  sc0 sc1 // load C for beta calc
GLOBAL_OFFSET_D 12, 6, 1, sgprWorkGroup2, 8
v_mov_b32 v8, v12                                  // temp store offset 0
v_mov_b32 v9, v13                                  // temp store offset 1
_v_add_co_u32 v12, vcc, v2, v8                     // addrVgpr = D + index*bytes (lo)
_v_addc_co_u32 v13, vcc, v3, v9, vcc               // addrVgpr = D + index*bytes (hi)
/* (d1,vc1,d0,vc0)=(1,0,5,0) */
s_mov_b32 s46, 640                                 // coordOffset0 d0=5 vc0=0
_v_add_co_u32 v6, vcc, v0, s46                     // coord0.2: coord0 += d0*sg0*VW + vc0
GLOBAL_OFFSET_C 14, 6, 1, sgprWorkGroup2, 8
v_mov_b32 v8, v14                                  // temp store offset 0
v_mov_b32 v9, v15                                  // temp store offset 1
_v_add_co_u32 v14, vcc, v4, v8                     // addrVgpr = C + index*bytes (lo)
_v_addc_co_u32 v15, vcc, v5, v9, vcc               // addrVgpr = C + index*bytes (hi)
_global_load_b128 v[24:27], v[14:15], off, offset:0,  sc0 sc1 // load C for beta calc
GLOBAL_OFFSET_D 14, 6, 1, sgprWorkGroup2, 8
v_mov_b32 v8, v14                                  // temp store offset 0
v_mov_b32 v9, v15                                  // temp store offset 1
_v_add_co_u32 v14, vcc, v2, v8                     // addrVgpr = D + index*bytes (lo)
_v_addc_co_u32 v15, vcc, v3, v9, vcc               // addrVgpr = D + index*bytes (hi)
/* (d1,vc1,d0,vc0)=(1,0,6,0) */
s_mov_b32 s46, 768                                 // coordOffset0 d0=6 vc0=0
_v_add_co_u32 v6, vcc, v0, s46                     // coord0.2: coord0 += d0*sg0*VW + vc0
GLOBAL_OFFSET_C 32, 6, 1, sgprWorkGroup2, 8
v_mov_b32 v8, v32                                  // temp store offset 0
v_mov_b32 v9, v33                                  // temp store offset 1
_v_add_co_u32 v32, vcc, v4, v8                     // addrVgpr = C + index*bytes (lo)
_v_addc_co_u32 v33, vcc, v5, v9, vcc               // addrVgpr = C + index*bytes (hi)
_global_load_b128 v[36:39], v[32:33], off, offset:0,  sc0 sc1 // load C for beta calc
GLOBAL_OFFSET_D 32, 6, 1, sgprWorkGroup2, 8
v_mov_b32 v8, v32                                  // temp store offset 0
v_mov_b32 v9, v33                                  // temp store offset 1
_v_add_co_u32 v32, vcc, v2, v8                     // addrVgpr = D + index*bytes (lo)
_v_addc_co_u32 v33, vcc, v3, v9, vcc               // addrVgpr = D + index*bytes (hi)
/* (d1,vc1,d0,vc0)=(1,0,7,0) */
s_mov_b32 s46, 896                                 // coordOffset0 d0=7 vc0=0
_v_add_co_u32 v6, vcc, v0, s46                     // coord0.2: coord0 += d0*sg0*VW + vc0
GLOBAL_OFFSET_C 34, 6, 1, sgprWorkGroup2, 8
v_mov_b32 v8, v34                                  // temp store offset 0
v_mov_b32 v9, v35                                  // temp store offset 1
_v_add_co_u32 v34, vcc, v4, v8                     // addrVgpr = C + index*bytes (lo)
_v_addc_co_u32 v35, vcc, v5, v9, vcc               // addrVgpr = C + index*bytes (hi)
_global_load_b128 v[44:47], v[34:35], off, offset:0,  sc0 sc1 // load C for beta calc
GLOBAL_OFFSET_D 34, 6, 1, sgprWorkGroup2, 8
v_mov_b32 v8, v34                                  // temp store offset 0
v_mov_b32 v9, v35                                  // temp store offset 1
_v_add_co_u32 v34, vcc, v2, v8                     // addrVgpr = D + index*bytes (lo)
_v_addc_co_u32 v35, vcc, v3, v9, vcc               // addrVgpr = D + index*bytes (hi)
s_sleep 5 // optimization: sync and wait
s_barrier
v_accvgpr_read_b32 v[vgprValuC+20], acc66 // copy acc to vreg[48]
v_accvgpr_read_b32 v[vgprValuC+21], acc67 // copy acc to vreg[49]
v_accvgpr_read_b32 v[vgprValuC+22], acc74 // copy acc to vreg[50]
v_accvgpr_read_b32 v[vgprValuC+23], acc75 // copy acc to vreg[51]
v_accvgpr_read_b32 v[vgprValuC+28], acc82 // copy acc to vreg[52]
v_accvgpr_read_b32 v[vgprValuC+29], acc83 // copy acc to vreg[53]
v_accvgpr_read_b32 v[vgprValuC+30], acc90 // copy acc to vreg[54]
v_accvgpr_read_b32 v[vgprValuC+31], acc91 // copy acc to vreg[55]
v_accvgpr_read_b32 v[vgprValuC+40], acc98 // copy acc to vreg[56]
v_accvgpr_read_b32 v[vgprValuC+41], acc99 // copy acc to vreg[57]
v_accvgpr_read_b32 v[vgprValuC+42], acc106 // copy acc to vreg[58]
v_accvgpr_read_b32 v[vgprValuC+43], acc107 // copy acc to vreg[59]
v_accvgpr_read_b32 v[vgprValuC+48], acc114 // copy acc to vreg[60]
v_accvgpr_read_b32 v[vgprValuC+49], acc115 // copy acc to vreg[61]
v_accvgpr_read_b32 v[vgprValuC+50], acc122 // copy acc to vreg[62]
v_accvgpr_read_b32 v[vgprValuC+51], acc123 // copy acc to vreg[63]
s_nop 1                                            // 2 wait states required before reading vgpr

/* rC *= alpha batchElements=[(1, 4, 0, 0), (1, 5, 0, 0), (1, 6, 0, 0), (1, 7, 0, 0)] */
v_mul_f64 v[vgprValuC+20:vgprValuC+20+1], s[sgprAlpha:sgprAlpha+1], v[vgprValuC+20:vgprValuC+20+1] // *= alpha
v_mul_f64 v[vgprValuC+22:vgprValuC+22+1], s[sgprAlpha:sgprAlpha+1], v[vgprValuC+22:vgprValuC+22+1] // *= alpha
	;; [unrolled: 1-line block ×8, first 2 shown]
s_waitcnt vmcnt(0)                                 // wait C

/* apply mask, calc new C and issue writes */
v_fma_f64 v[vgprValuC+20:vgprValuC+20+1], v[16:17], s[sgprBeta:sgprBeta+1], v[vgprValuC+20:vgprValuC+20+1] // finalSum = sum*alpha + C*beta
v_fma_f64 v[vgprValuC+22:vgprValuC+22+1], v[18:19], s[sgprBeta:sgprBeta+1], v[vgprValuC+22:vgprValuC+22+1] // finalSum = sum*alpha + C*beta
_global_store_b128 v[12:13], v[20:23], off,  sc0 sc1 // store D
v_fma_f64 v[vgprValuC+28:vgprValuC+28+1], v[24:25], s[sgprBeta:sgprBeta+1], v[vgprValuC+28:vgprValuC+28+1] // finalSum = sum*alpha + C*beta
v_fma_f64 v[vgprValuC+30:vgprValuC+30+1], v[26:27], s[sgprBeta:sgprBeta+1], v[vgprValuC+30:vgprValuC+30+1] // finalSum = sum*alpha + C*beta
_global_store_b128 v[14:15], v[28:31], off,  sc0 sc1 // store D
	;; [unrolled: 3-line block ×4, first 2 shown]
s_nop 0                                            // 1 wait state required when next inst writes vgprs held by previous dwordx4 store inst
/* optSingleColVgpr=0 optSharedColVgpr=0 optSGPRUsage=None optSrdIncForRow=0 */
s_sleep 5 // optimization: sync and wait
s_barrier

/******************************************/
/* Global Write Alpha Beta Batch #4 (d1,d0,vc1,vc0) = */
/*    (2,0,0,0:vw2); (2,1,0,0:vw2); (2,2,0,0:vw2); (2,3,0,0:vw2) */
/******************************************/

/* calc coords, apply mask, and issue loads (if necessary) */
/* (d1,vc1,d0,vc0)=(2,0,0,0) */
_v_add_co_u32 v1, vcc, v1, 4                       // coord1.1: coord1Vgpr += d1*sg1*VW + vc1
GLOBAL_OFFSET_C 12, 0, 1, sgprWorkGroup2, 8
v_mov_b32 v8, v12                                  // temp store offset 0
v_mov_b32 v9, v13                                  // temp store offset 1
_v_add_co_u32 v12, vcc, v4, v8                     // addrVgpr = C + index*bytes (lo)
_v_addc_co_u32 v13, vcc, v5, v9, vcc               // addrVgpr = C + index*bytes (hi)
_global_load_b128 v[16:19], v[12:13], off, offset:0,  sc0 sc1 // load C for beta calc
GLOBAL_OFFSET_D 12, 0, 1, sgprWorkGroup2, 8
v_mov_b32 v8, v12                                  // temp store offset 0
v_mov_b32 v9, v13                                  // temp store offset 1
_v_add_co_u32 v12, vcc, v2, v8                     // addrVgpr = D + index*bytes (lo)
_v_addc_co_u32 v13, vcc, v3, v9, vcc               // addrVgpr = D + index*bytes (hi)
/* (d1,vc1,d0,vc0)=(2,0,1,0) */
s_mov_b32 s46, 128                                 // coordOffset0 d0=1 vc0=0
_v_add_co_u32 v6, vcc, v0, s46                     // coord0.2: coord0 += d0*sg0*VW + vc0
GLOBAL_OFFSET_C 14, 6, 1, sgprWorkGroup2, 8
v_mov_b32 v8, v14                                  // temp store offset 0
v_mov_b32 v9, v15                                  // temp store offset 1
_v_add_co_u32 v14, vcc, v4, v8                     // addrVgpr = C + index*bytes (lo)
_v_addc_co_u32 v15, vcc, v5, v9, vcc               // addrVgpr = C + index*bytes (hi)
_global_load_b128 v[24:27], v[14:15], off, offset:0,  sc0 sc1 // load C for beta calc
GLOBAL_OFFSET_D 14, 6, 1, sgprWorkGroup2, 8
v_mov_b32 v8, v14                                  // temp store offset 0
v_mov_b32 v9, v15                                  // temp store offset 1
_v_add_co_u32 v14, vcc, v2, v8                     // addrVgpr = D + index*bytes (lo)
_v_addc_co_u32 v15, vcc, v3, v9, vcc               // addrVgpr = D + index*bytes (hi)
/* (d1,vc1,d0,vc0)=(2,0,2,0) */
s_mov_b32 s46, 256                                 // coordOffset0 d0=2 vc0=0
_v_add_co_u32 v6, vcc, v0, s46                     // coord0.2: coord0 += d0*sg0*VW + vc0
	;; [unrolled: 14-line block ×3, first 2 shown]
GLOBAL_OFFSET_C 34, 6, 1, sgprWorkGroup2, 8
v_mov_b32 v8, v34                                  // temp store offset 0
v_mov_b32 v9, v35                                  // temp store offset 1
_v_add_co_u32 v34, vcc, v4, v8                     // addrVgpr = C + index*bytes (lo)
_v_addc_co_u32 v35, vcc, v5, v9, vcc               // addrVgpr = C + index*bytes (hi)
_global_load_b128 v[44:47], v[34:35], off, offset:0,  sc0 sc1 // load C for beta calc
GLOBAL_OFFSET_D 34, 6, 1, sgprWorkGroup2, 8
v_mov_b32 v8, v34                                  // temp store offset 0
v_mov_b32 v9, v35                                  // temp store offset 1
_v_add_co_u32 v34, vcc, v2, v8                     // addrVgpr = D + index*bytes (lo)
_v_addc_co_u32 v35, vcc, v3, v9, vcc               // addrVgpr = D + index*bytes (hi)
s_sleep 5 // optimization: sync and wait
s_barrier
v_accvgpr_read_b32 v[vgprValuC+20], acc4 // copy acc to vreg[64]
v_accvgpr_read_b32 v[vgprValuC+21], acc5 // copy acc to vreg[65]
v_accvgpr_read_b32 v[vgprValuC+22], acc12 // copy acc to vreg[66]
v_accvgpr_read_b32 v[vgprValuC+23], acc13 // copy acc to vreg[67]
v_accvgpr_read_b32 v[vgprValuC+28], acc20 // copy acc to vreg[68]
v_accvgpr_read_b32 v[vgprValuC+29], acc21 // copy acc to vreg[69]
v_accvgpr_read_b32 v[vgprValuC+30], acc28 // copy acc to vreg[70]
v_accvgpr_read_b32 v[vgprValuC+31], acc29 // copy acc to vreg[71]
v_accvgpr_read_b32 v[vgprValuC+40], acc36 // copy acc to vreg[72]
v_accvgpr_read_b32 v[vgprValuC+41], acc37 // copy acc to vreg[73]
v_accvgpr_read_b32 v[vgprValuC+42], acc44 // copy acc to vreg[74]
v_accvgpr_read_b32 v[vgprValuC+43], acc45 // copy acc to vreg[75]
v_accvgpr_read_b32 v[vgprValuC+48], acc52 // copy acc to vreg[76]
v_accvgpr_read_b32 v[vgprValuC+49], acc53 // copy acc to vreg[77]
v_accvgpr_read_b32 v[vgprValuC+50], acc60 // copy acc to vreg[78]
v_accvgpr_read_b32 v[vgprValuC+51], acc61 // copy acc to vreg[79]
s_nop 1                                            // 2 wait states required before reading vgpr

/* rC *= alpha batchElements=[(2, 0, 0, 0), (2, 1, 0, 0), (2, 2, 0, 0), (2, 3, 0, 0)] */
v_mul_f64 v[vgprValuC+20:vgprValuC+20+1], s[sgprAlpha:sgprAlpha+1], v[vgprValuC+20:vgprValuC+20+1] // *= alpha
v_mul_f64 v[vgprValuC+22:vgprValuC+22+1], s[sgprAlpha:sgprAlpha+1], v[vgprValuC+22:vgprValuC+22+1] // *= alpha
	;; [unrolled: 1-line block ×8, first 2 shown]
s_waitcnt vmcnt(0)                                 // wait C

/* apply mask, calc new C and issue writes */
v_fma_f64 v[vgprValuC+20:vgprValuC+20+1], v[16:17], s[sgprBeta:sgprBeta+1], v[vgprValuC+20:vgprValuC+20+1] // finalSum = sum*alpha + C*beta
v_fma_f64 v[vgprValuC+22:vgprValuC+22+1], v[18:19], s[sgprBeta:sgprBeta+1], v[vgprValuC+22:vgprValuC+22+1] // finalSum = sum*alpha + C*beta
_global_store_b128 v[12:13], v[20:23], off,  sc0 sc1 // store D
v_fma_f64 v[vgprValuC+28:vgprValuC+28+1], v[24:25], s[sgprBeta:sgprBeta+1], v[vgprValuC+28:vgprValuC+28+1] // finalSum = sum*alpha + C*beta
v_fma_f64 v[vgprValuC+30:vgprValuC+30+1], v[26:27], s[sgprBeta:sgprBeta+1], v[vgprValuC+30:vgprValuC+30+1] // finalSum = sum*alpha + C*beta
_global_store_b128 v[14:15], v[28:31], off,  sc0 sc1 // store D
	;; [unrolled: 3-line block ×4, first 2 shown]
s_nop 0                                            // 1 wait state required when next inst writes vgprs held by previous dwordx4 store inst
/* optSingleColVgpr=0 optSharedColVgpr=0 optSGPRUsage=None optSrdIncForRow=0 */
s_sleep 5 // optimization: sync and wait
s_barrier

/******************************************/
/* Global Write Alpha Beta Batch #5 (d1,d0,vc1,vc0) = */
/*    (2,4,0,0:vw2); (2,5,0,0:vw2); (2,6,0,0:vw2); (2,7,0,0:vw2) */
/******************************************/

/* calc coords, apply mask, and issue loads (if necessary) */
/* (d1,vc1,d0,vc0)=(2,0,4,0) */
s_mov_b32 s46, 512                                 // coordOffset0 d0=4 vc0=0
_v_add_co_u32 v6, vcc, v0, s46                     // coord0.2: coord0 += d0*sg0*VW + vc0
GLOBAL_OFFSET_C 12, 6, 1, sgprWorkGroup2, 8
v_mov_b32 v8, v12                                  // temp store offset 0
v_mov_b32 v9, v13                                  // temp store offset 1
_v_add_co_u32 v12, vcc, v4, v8                     // addrVgpr = C + index*bytes (lo)
_v_addc_co_u32 v13, vcc, v5, v9, vcc               // addrVgpr = C + index*bytes (hi)
_global_load_b128 v[16:19], v[12:13], off, offset:0,  sc0 sc1 // load C for beta calc
GLOBAL_OFFSET_D 12, 6, 1, sgprWorkGroup2, 8
v_mov_b32 v8, v12                                  // temp store offset 0
v_mov_b32 v9, v13                                  // temp store offset 1
_v_add_co_u32 v12, vcc, v2, v8                     // addrVgpr = D + index*bytes (lo)
_v_addc_co_u32 v13, vcc, v3, v9, vcc               // addrVgpr = D + index*bytes (hi)
/* (d1,vc1,d0,vc0)=(2,0,5,0) */
s_mov_b32 s46, 640                                 // coordOffset0 d0=5 vc0=0
_v_add_co_u32 v6, vcc, v0, s46                     // coord0.2: coord0 += d0*sg0*VW + vc0
GLOBAL_OFFSET_C 14, 6, 1, sgprWorkGroup2, 8
v_mov_b32 v8, v14                                  // temp store offset 0
v_mov_b32 v9, v15                                  // temp store offset 1
_v_add_co_u32 v14, vcc, v4, v8                     // addrVgpr = C + index*bytes (lo)
_v_addc_co_u32 v15, vcc, v5, v9, vcc               // addrVgpr = C + index*bytes (hi)
_global_load_b128 v[24:27], v[14:15], off, offset:0,  sc0 sc1 // load C for beta calc
GLOBAL_OFFSET_D 14, 6, 1, sgprWorkGroup2, 8
v_mov_b32 v8, v14                                  // temp store offset 0
v_mov_b32 v9, v15                                  // temp store offset 1
_v_add_co_u32 v14, vcc, v2, v8                     // addrVgpr = D + index*bytes (lo)
_v_addc_co_u32 v15, vcc, v3, v9, vcc               // addrVgpr = D + index*bytes (hi)
	;; [unrolled: 14-line block ×4, first 2 shown]
s_sleep 5 // optimization: sync and wait
s_barrier
v_accvgpr_read_b32 v[vgprValuC+20], acc68 // copy acc to vreg[80]
v_accvgpr_read_b32 v[vgprValuC+21], acc69 // copy acc to vreg[81]
v_accvgpr_read_b32 v[vgprValuC+22], acc76 // copy acc to vreg[82]
v_accvgpr_read_b32 v[vgprValuC+23], acc77 // copy acc to vreg[83]
v_accvgpr_read_b32 v[vgprValuC+28], acc84 // copy acc to vreg[84]
v_accvgpr_read_b32 v[vgprValuC+29], acc85 // copy acc to vreg[85]
v_accvgpr_read_b32 v[vgprValuC+30], acc92 // copy acc to vreg[86]
v_accvgpr_read_b32 v[vgprValuC+31], acc93 // copy acc to vreg[87]
v_accvgpr_read_b32 v[vgprValuC+40], acc100 // copy acc to vreg[88]
v_accvgpr_read_b32 v[vgprValuC+41], acc101 // copy acc to vreg[89]
v_accvgpr_read_b32 v[vgprValuC+42], acc108 // copy acc to vreg[90]
v_accvgpr_read_b32 v[vgprValuC+43], acc109 // copy acc to vreg[91]
v_accvgpr_read_b32 v[vgprValuC+48], acc116 // copy acc to vreg[92]
v_accvgpr_read_b32 v[vgprValuC+49], acc117 // copy acc to vreg[93]
v_accvgpr_read_b32 v[vgprValuC+50], acc124 // copy acc to vreg[94]
v_accvgpr_read_b32 v[vgprValuC+51], acc125 // copy acc to vreg[95]
s_nop 1                                            // 2 wait states required before reading vgpr

/* rC *= alpha batchElements=[(2, 4, 0, 0), (2, 5, 0, 0), (2, 6, 0, 0), (2, 7, 0, 0)] */
v_mul_f64 v[vgprValuC+20:vgprValuC+20+1], s[sgprAlpha:sgprAlpha+1], v[vgprValuC+20:vgprValuC+20+1] // *= alpha
v_mul_f64 v[vgprValuC+22:vgprValuC+22+1], s[sgprAlpha:sgprAlpha+1], v[vgprValuC+22:vgprValuC+22+1] // *= alpha
	;; [unrolled: 1-line block ×8, first 2 shown]
s_waitcnt vmcnt(0)                                 // wait C

/* apply mask, calc new C and issue writes */
v_fma_f64 v[vgprValuC+20:vgprValuC+20+1], v[16:17], s[sgprBeta:sgprBeta+1], v[vgprValuC+20:vgprValuC+20+1] // finalSum = sum*alpha + C*beta
v_fma_f64 v[vgprValuC+22:vgprValuC+22+1], v[18:19], s[sgprBeta:sgprBeta+1], v[vgprValuC+22:vgprValuC+22+1] // finalSum = sum*alpha + C*beta
_global_store_b128 v[12:13], v[20:23], off,  sc0 sc1 // store D
v_fma_f64 v[vgprValuC+28:vgprValuC+28+1], v[24:25], s[sgprBeta:sgprBeta+1], v[vgprValuC+28:vgprValuC+28+1] // finalSum = sum*alpha + C*beta
v_fma_f64 v[vgprValuC+30:vgprValuC+30+1], v[26:27], s[sgprBeta:sgprBeta+1], v[vgprValuC+30:vgprValuC+30+1] // finalSum = sum*alpha + C*beta
_global_store_b128 v[14:15], v[28:31], off,  sc0 sc1 // store D
	;; [unrolled: 3-line block ×4, first 2 shown]
s_nop 0                                            // 1 wait state required when next inst writes vgprs held by previous dwordx4 store inst
/* optSingleColVgpr=0 optSharedColVgpr=0 optSGPRUsage=None optSrdIncForRow=0 */
s_sleep 5 // optimization: sync and wait
s_barrier

/******************************************/
/* Global Write Alpha Beta Batch #6 (d1,d0,vc1,vc0) = */
/*    (3,0,0,0:vw2); (3,1,0,0:vw2); (3,2,0,0:vw2); (3,3,0,0:vw2) */
/******************************************/

/* calc coords, apply mask, and issue loads (if necessary) */
/* (d1,vc1,d0,vc0)=(3,0,0,0) */
_v_add_co_u32 v1, vcc, v1, 4                       // coord1.1: coord1Vgpr += d1*sg1*VW + vc1
GLOBAL_OFFSET_C 12, 0, 1, sgprWorkGroup2, 8
v_mov_b32 v8, v12                                  // temp store offset 0
v_mov_b32 v9, v13                                  // temp store offset 1
_v_add_co_u32 v12, vcc, v4, v8                     // addrVgpr = C + index*bytes (lo)
_v_addc_co_u32 v13, vcc, v5, v9, vcc               // addrVgpr = C + index*bytes (hi)
_global_load_b128 v[16:19], v[12:13], off, offset:0,  sc0 sc1 // load C for beta calc
GLOBAL_OFFSET_D 12, 0, 1, sgprWorkGroup2, 8
v_mov_b32 v8, v12                                  // temp store offset 0
v_mov_b32 v9, v13                                  // temp store offset 1
_v_add_co_u32 v12, vcc, v2, v8                     // addrVgpr = D + index*bytes (lo)
_v_addc_co_u32 v13, vcc, v3, v9, vcc               // addrVgpr = D + index*bytes (hi)
/* (d1,vc1,d0,vc0)=(3,0,1,0) */
s_mov_b32 s46, 128                                 // coordOffset0 d0=1 vc0=0
_v_add_co_u32 v6, vcc, v0, s46                     // coord0.2: coord0 += d0*sg0*VW + vc0
GLOBAL_OFFSET_C 14, 6, 1, sgprWorkGroup2, 8
v_mov_b32 v8, v14                                  // temp store offset 0
v_mov_b32 v9, v15                                  // temp store offset 1
_v_add_co_u32 v14, vcc, v4, v8                     // addrVgpr = C + index*bytes (lo)
_v_addc_co_u32 v15, vcc, v5, v9, vcc               // addrVgpr = C + index*bytes (hi)
_global_load_b128 v[24:27], v[14:15], off, offset:0,  sc0 sc1 // load C for beta calc
GLOBAL_OFFSET_D 14, 6, 1, sgprWorkGroup2, 8
v_mov_b32 v8, v14                                  // temp store offset 0
v_mov_b32 v9, v15                                  // temp store offset 1
_v_add_co_u32 v14, vcc, v2, v8                     // addrVgpr = D + index*bytes (lo)
_v_addc_co_u32 v15, vcc, v3, v9, vcc               // addrVgpr = D + index*bytes (hi)
/* (d1,vc1,d0,vc0)=(3,0,2,0) */
s_mov_b32 s46, 256                                 // coordOffset0 d0=2 vc0=0
_v_add_co_u32 v6, vcc, v0, s46                     // coord0.2: coord0 += d0*sg0*VW + vc0
	;; [unrolled: 14-line block ×3, first 2 shown]
GLOBAL_OFFSET_C 34, 6, 1, sgprWorkGroup2, 8
v_mov_b32 v8, v34                                  // temp store offset 0
v_mov_b32 v9, v35                                  // temp store offset 1
_v_add_co_u32 v34, vcc, v4, v8                     // addrVgpr = C + index*bytes (lo)
_v_addc_co_u32 v35, vcc, v5, v9, vcc               // addrVgpr = C + index*bytes (hi)
_global_load_b128 v[44:47], v[34:35], off, offset:0,  sc0 sc1 // load C for beta calc
GLOBAL_OFFSET_D 34, 6, 1, sgprWorkGroup2, 8
v_mov_b32 v8, v34                                  // temp store offset 0
v_mov_b32 v9, v35                                  // temp store offset 1
_v_add_co_u32 v34, vcc, v2, v8                     // addrVgpr = D + index*bytes (lo)
_v_addc_co_u32 v35, vcc, v3, v9, vcc               // addrVgpr = D + index*bytes (hi)
s_sleep 5 // optimization: sync and wait
s_barrier
v_accvgpr_read_b32 v[vgprValuC+20], acc6 // copy acc to vreg[96]
v_accvgpr_read_b32 v[vgprValuC+21], acc7 // copy acc to vreg[97]
v_accvgpr_read_b32 v[vgprValuC+22], acc14 // copy acc to vreg[98]
v_accvgpr_read_b32 v[vgprValuC+23], acc15 // copy acc to vreg[99]
v_accvgpr_read_b32 v[vgprValuC+28], acc22 // copy acc to vreg[100]
v_accvgpr_read_b32 v[vgprValuC+29], acc23 // copy acc to vreg[101]
v_accvgpr_read_b32 v[vgprValuC+30], acc30 // copy acc to vreg[102]
v_accvgpr_read_b32 v[vgprValuC+31], acc31 // copy acc to vreg[103]
v_accvgpr_read_b32 v[vgprValuC+40], acc38 // copy acc to vreg[104]
v_accvgpr_read_b32 v[vgprValuC+41], acc39 // copy acc to vreg[105]
v_accvgpr_read_b32 v[vgprValuC+42], acc46 // copy acc to vreg[106]
v_accvgpr_read_b32 v[vgprValuC+43], acc47 // copy acc to vreg[107]
v_accvgpr_read_b32 v[vgprValuC+48], acc54 // copy acc to vreg[108]
v_accvgpr_read_b32 v[vgprValuC+49], acc55 // copy acc to vreg[109]
v_accvgpr_read_b32 v[vgprValuC+50], acc62 // copy acc to vreg[110]
v_accvgpr_read_b32 v[vgprValuC+51], acc63 // copy acc to vreg[111]
s_nop 1                                            // 2 wait states required before reading vgpr

/* rC *= alpha batchElements=[(3, 0, 0, 0), (3, 1, 0, 0), (3, 2, 0, 0), (3, 3, 0, 0)] */
v_mul_f64 v[vgprValuC+20:vgprValuC+20+1], s[sgprAlpha:sgprAlpha+1], v[vgprValuC+20:vgprValuC+20+1] // *= alpha
v_mul_f64 v[vgprValuC+22:vgprValuC+22+1], s[sgprAlpha:sgprAlpha+1], v[vgprValuC+22:vgprValuC+22+1] // *= alpha
	;; [unrolled: 1-line block ×8, first 2 shown]
s_waitcnt vmcnt(0)                                 // wait C

/* apply mask, calc new C and issue writes */
v_fma_f64 v[vgprValuC+20:vgprValuC+20+1], v[16:17], s[sgprBeta:sgprBeta+1], v[vgprValuC+20:vgprValuC+20+1] // finalSum = sum*alpha + C*beta
v_fma_f64 v[vgprValuC+22:vgprValuC+22+1], v[18:19], s[sgprBeta:sgprBeta+1], v[vgprValuC+22:vgprValuC+22+1] // finalSum = sum*alpha + C*beta
_global_store_b128 v[12:13], v[20:23], off,  sc0 sc1 // store D
v_fma_f64 v[vgprValuC+28:vgprValuC+28+1], v[24:25], s[sgprBeta:sgprBeta+1], v[vgprValuC+28:vgprValuC+28+1] // finalSum = sum*alpha + C*beta
v_fma_f64 v[vgprValuC+30:vgprValuC+30+1], v[26:27], s[sgprBeta:sgprBeta+1], v[vgprValuC+30:vgprValuC+30+1] // finalSum = sum*alpha + C*beta
_global_store_b128 v[14:15], v[28:31], off,  sc0 sc1 // store D
	;; [unrolled: 3-line block ×4, first 2 shown]
s_nop 0                                            // 1 wait state required when next inst writes vgprs held by previous dwordx4 store inst
/* optSingleColVgpr=0 optSharedColVgpr=0 optSGPRUsage=None optSrdIncForRow=0 */
s_sleep 5 // optimization: sync and wait
s_barrier

/******************************************/
/* Global Write Alpha Beta Batch #7 (d1,d0,vc1,vc0) = */
/*    (3,4,0,0:vw2); (3,5,0,0:vw2); (3,6,0,0:vw2); (3,7,0,0:vw2) */
/******************************************/

/* calc coords, apply mask, and issue loads (if necessary) */
/* (d1,vc1,d0,vc0)=(3,0,4,0) */
s_mov_b32 s46, 512                                 // coordOffset0 d0=4 vc0=0
_v_add_co_u32 v6, vcc, v0, s46                     // coord0.2: coord0 += d0*sg0*VW + vc0
GLOBAL_OFFSET_C 12, 6, 1, sgprWorkGroup2, 8
v_mov_b32 v8, v12                                  // temp store offset 0
v_mov_b32 v9, v13                                  // temp store offset 1
_v_add_co_u32 v12, vcc, v4, v8                     // addrVgpr = C + index*bytes (lo)
_v_addc_co_u32 v13, vcc, v5, v9, vcc               // addrVgpr = C + index*bytes (hi)
_global_load_b128 v[16:19], v[12:13], off, offset:0,  sc0 sc1 // load C for beta calc
GLOBAL_OFFSET_D 12, 6, 1, sgprWorkGroup2, 8
v_mov_b32 v8, v12                                  // temp store offset 0
v_mov_b32 v9, v13                                  // temp store offset 1
_v_add_co_u32 v12, vcc, v2, v8                     // addrVgpr = D + index*bytes (lo)
_v_addc_co_u32 v13, vcc, v3, v9, vcc               // addrVgpr = D + index*bytes (hi)
/* (d1,vc1,d0,vc0)=(3,0,5,0) */
s_mov_b32 s46, 640                                 // coordOffset0 d0=5 vc0=0
_v_add_co_u32 v6, vcc, v0, s46                     // coord0.2: coord0 += d0*sg0*VW + vc0
GLOBAL_OFFSET_C 14, 6, 1, sgprWorkGroup2, 8
v_mov_b32 v8, v14                                  // temp store offset 0
v_mov_b32 v9, v15                                  // temp store offset 1
_v_add_co_u32 v14, vcc, v4, v8                     // addrVgpr = C + index*bytes (lo)
_v_addc_co_u32 v15, vcc, v5, v9, vcc               // addrVgpr = C + index*bytes (hi)
_global_load_b128 v[24:27], v[14:15], off, offset:0,  sc0 sc1 // load C for beta calc
GLOBAL_OFFSET_D 14, 6, 1, sgprWorkGroup2, 8
v_mov_b32 v8, v14                                  // temp store offset 0
v_mov_b32 v9, v15                                  // temp store offset 1
_v_add_co_u32 v14, vcc, v2, v8                     // addrVgpr = D + index*bytes (lo)
_v_addc_co_u32 v15, vcc, v3, v9, vcc               // addrVgpr = D + index*bytes (hi)
	;; [unrolled: 14-line block ×4, first 2 shown]
s_sleep 5 // optimization: sync and wait
s_barrier
v_accvgpr_read_b32 v[vgprValuC+20], acc70 // copy acc to vreg[112]
v_accvgpr_read_b32 v[vgprValuC+21], acc71 // copy acc to vreg[113]
v_accvgpr_read_b32 v[vgprValuC+22], acc78 // copy acc to vreg[114]
v_accvgpr_read_b32 v[vgprValuC+23], acc79 // copy acc to vreg[115]
v_accvgpr_read_b32 v[vgprValuC+28], acc86 // copy acc to vreg[116]
v_accvgpr_read_b32 v[vgprValuC+29], acc87 // copy acc to vreg[117]
v_accvgpr_read_b32 v[vgprValuC+30], acc94 // copy acc to vreg[118]
v_accvgpr_read_b32 v[vgprValuC+31], acc95 // copy acc to vreg[119]
v_accvgpr_read_b32 v[vgprValuC+40], acc102 // copy acc to vreg[120]
v_accvgpr_read_b32 v[vgprValuC+41], acc103 // copy acc to vreg[121]
v_accvgpr_read_b32 v[vgprValuC+42], acc110 // copy acc to vreg[122]
v_accvgpr_read_b32 v[vgprValuC+43], acc111 // copy acc to vreg[123]
v_accvgpr_read_b32 v[vgprValuC+48], acc118 // copy acc to vreg[124]
v_accvgpr_read_b32 v[vgprValuC+49], acc119 // copy acc to vreg[125]
v_accvgpr_read_b32 v[vgprValuC+50], acc126 // copy acc to vreg[126]
v_accvgpr_read_b32 v[vgprValuC+51], acc127 // copy acc to vreg[127]
s_nop 1                                            // 2 wait states required before reading vgpr

/* rC *= alpha batchElements=[(3, 4, 0, 0), (3, 5, 0, 0), (3, 6, 0, 0), (3, 7, 0, 0)] */
v_mul_f64 v[vgprValuC+20:vgprValuC+20+1], s[sgprAlpha:sgprAlpha+1], v[vgprValuC+20:vgprValuC+20+1] // *= alpha
v_mul_f64 v[vgprValuC+22:vgprValuC+22+1], s[sgprAlpha:sgprAlpha+1], v[vgprValuC+22:vgprValuC+22+1] // *= alpha
	;; [unrolled: 1-line block ×8, first 2 shown]
s_waitcnt vmcnt(0)                                 // wait C

/* apply mask, calc new C and issue writes */
v_fma_f64 v[vgprValuC+20:vgprValuC+20+1], v[16:17], s[sgprBeta:sgprBeta+1], v[vgprValuC+20:vgprValuC+20+1] // finalSum = sum*alpha + C*beta
v_fma_f64 v[vgprValuC+22:vgprValuC+22+1], v[18:19], s[sgprBeta:sgprBeta+1], v[vgprValuC+22:vgprValuC+22+1] // finalSum = sum*alpha + C*beta
_global_store_b128 v[12:13], v[20:23], off,  sc0 sc1 // store D
v_fma_f64 v[vgprValuC+28:vgprValuC+28+1], v[24:25], s[sgprBeta:sgprBeta+1], v[vgprValuC+28:vgprValuC+28+1] // finalSum = sum*alpha + C*beta
v_fma_f64 v[vgprValuC+30:vgprValuC+30+1], v[26:27], s[sgprBeta:sgprBeta+1], v[vgprValuC+30:vgprValuC+30+1] // finalSum = sum*alpha + C*beta
_global_store_b128 v[14:15], v[28:31], off,  sc0 sc1 // store D
v_fma_f64 v[vgprValuC+40:vgprValuC+40+1], v[36:37], s[sgprBeta:sgprBeta+1], v[vgprValuC+40:vgprValuC+40+1] // finalSum = sum*alpha + C*beta
v_fma_f64 v[vgprValuC+42:vgprValuC+42+1], v[38:39], s[sgprBeta:sgprBeta+1], v[vgprValuC+42:vgprValuC+42+1] // finalSum = sum*alpha + C*beta
_global_store_b128 v[32:33], v[40:43], off,  sc0 sc1 // store D
v_fma_f64 v[vgprValuC+48:vgprValuC+48+1], v[44:45], s[sgprBeta:sgprBeta+1], v[vgprValuC+48:vgprValuC+48+1] // finalSum = sum*alpha + C*beta
v_fma_f64 v[vgprValuC+50:vgprValuC+50+1], v[46:47], s[sgprBeta:sgprBeta+1], v[vgprValuC+50:vgprValuC+50+1] // finalSum = sum*alpha + C*beta
_global_store_b128 v[34:35], v[48:51], off,  sc0 sc1 // store D
s_nop 0                                            // 1 wait state required when next inst writes vgprs held by previous dwordx4 store inst
s_branch label_GW_End_37                           // jump to end
GW_B1_E1_36:

/* edge=1, allocate 12 sgpr. perBatchTmpS=4 perBatchMaskS=0 perElementMaskS=2 elementsPerBatch=4 */
/* optSingleColVgpr=0 optSharedColVgpr=0 optSGPRUsage=None optSrdIncForRow=0 */
s_sleep 5 // optimization: sync and wait
s_barrier

/******************************************/
/* Global Write Alpha Beta Edge Batch #0 (d1,d0,vc1,vc0) = */
/*    (0,0,0,0:vw2); (0,1,0,0:vw2); (0,2,0,0:vw2); (0,3,0,0:vw2) */
/******************************************/

/* calc coords, apply mask, and issue loads (if necessary) */
/* (d1,vc1,d0,vc0)=(0,0,0,0) */
GLOBAL_OFFSET_C 12, 0, 1, sgprWorkGroup2, 8
v_mov_b32 v8, v12                                  // temp store offset 0
v_mov_b32 v9, v13                                  // temp store offset 1
v_cmp_lt_u32 s[46:47], v0, s[sgprSizesFree+0]      // coord0 < size0
v_cmp_lt_u32 s[48:49], v1, s[sgprSizesFree+1]      // coord1 < size1
s_and_b64 s[50:51], s[46:47], s[48:49]             // in0 && in1
s_mov_b64 exec, s[50:51]                           // sgprs -> exec
_v_add_co_u32 v12, vcc, v4, v8                     // addrVgpr = C + index*bytes (lo)
_v_addc_co_u32 v13, vcc, v5, v9, vcc               // addrVgpr = C + index*bytes (hi)
_global_load_b128 v[16:19], v[12:13], off, offset:0,  sc0 sc1 // load C for beta calc
GLOBAL_OFFSET_D 12, 0, 1, sgprWorkGroup2, 8
v_mov_b32 v8, v12                                  // temp store offset 0
v_mov_b32 v9, v13                                  // temp store offset 1
v_cmp_lt_u32 s[46:47], v0, s[sgprSizesFree+0]      // coord0 < size0
v_cmp_lt_u32 s[48:49], v1, s[sgprSizesFree+1]      // coord1 < size1
s_and_b64 s[50:51], s[46:47], s[48:49]             // in0 && in1
s_mov_b64 exec, s[50:51]                           // sgprs -> exec
_v_add_co_u32 v12, vcc, v2, v8                     // addrVgpr = D + index*bytes (lo)
_v_addc_co_u32 v13, vcc, v3, v9, vcc               // addrVgpr = D + index*bytes (hi)
s_mov_b64 exec, -1                                 // full mask -1 -> exec
/* (d1,vc1,d0,vc0)=(0,0,1,0) */
s_mov_b32 s46, 128                                 // coordOffset0 d0=1 vc0=0
_v_add_co_u32 v6, vcc, v0, s46                     // coord0.2: coord0 += d0*sg0*VW + vc0
GLOBAL_OFFSET_C 14, 6, 1, sgprWorkGroup2, 8
v_mov_b32 v8, v14                                  // temp store offset 0
v_mov_b32 v9, v15                                  // temp store offset 1
v_cmp_lt_u32 s[46:47], v6, s[sgprSizesFree+0]      // coord0 < size0
v_cmp_lt_u32 s[48:49], v1, s[sgprSizesFree+1]      // coord1 < size1
s_and_b64 s[52:53], s[46:47], s[48:49]             // in0 && in1
s_mov_b64 exec, s[52:53]                           // sgprs -> exec
_v_add_co_u32 v14, vcc, v4, v8                     // addrVgpr = C + index*bytes (lo)
_v_addc_co_u32 v15, vcc, v5, v9, vcc               // addrVgpr = C + index*bytes (hi)
_global_load_b128 v[24:27], v[14:15], off, offset:0,  sc0 sc1 // load C for beta calc
GLOBAL_OFFSET_D 14, 6, 1, sgprWorkGroup2, 8
v_mov_b32 v8, v14                                  // temp store offset 0
v_mov_b32 v9, v15                                  // temp store offset 1
v_cmp_lt_u32 s[46:47], v6, s[sgprSizesFree+0]      // coord0 < size0
v_cmp_lt_u32 s[48:49], v1, s[sgprSizesFree+1]      // coord1 < size1
s_and_b64 s[52:53], s[46:47], s[48:49]             // in0 && in1
s_mov_b64 exec, s[52:53]                           // sgprs -> exec
_v_add_co_u32 v14, vcc, v2, v8                     // addrVgpr = D + index*bytes (lo)
_v_addc_co_u32 v15, vcc, v3, v9, vcc               // addrVgpr = D + index*bytes (hi)
s_mov_b64 exec, -1                                 // full mask -1 -> exec
/* (d1,vc1,d0,vc0)=(0,0,2,0) */
s_mov_b32 s46, 256                                 // coordOffset0 d0=2 vc0=0
_v_add_co_u32 v6, vcc, v0, s46                     // coord0.2: coord0 += d0*sg0*VW + vc0
	;; [unrolled: 23-line block ×3, first 2 shown]
GLOBAL_OFFSET_C 34, 6, 1, sgprWorkGroup2, 8
v_mov_b32 v8, v34                                  // temp store offset 0
v_mov_b32 v9, v35                                  // temp store offset 1
v_cmp_lt_u32 s[46:47], v6, s[sgprSizesFree+0]      // coord0 < size0
v_cmp_lt_u32 s[48:49], v1, s[sgprSizesFree+1]      // coord1 < size1
s_and_b64 s[56:57], s[46:47], s[48:49]             // in0 && in1
s_mov_b64 exec, s[56:57]                           // sgprs -> exec
_v_add_co_u32 v34, vcc, v4, v8                     // addrVgpr = C + index*bytes (lo)
_v_addc_co_u32 v35, vcc, v5, v9, vcc               // addrVgpr = C + index*bytes (hi)
_global_load_b128 v[44:47], v[34:35], off, offset:0,  sc0 sc1 // load C for beta calc
GLOBAL_OFFSET_D 34, 6, 1, sgprWorkGroup2, 8
v_mov_b32 v8, v34                                  // temp store offset 0
v_mov_b32 v9, v35                                  // temp store offset 1
v_cmp_lt_u32 s[46:47], v6, s[sgprSizesFree+0]      // coord0 < size0
v_cmp_lt_u32 s[48:49], v1, s[sgprSizesFree+1]      // coord1 < size1
s_and_b64 s[56:57], s[46:47], s[48:49]             // in0 && in1
s_mov_b64 exec, s[56:57]                           // sgprs -> exec
_v_add_co_u32 v34, vcc, v2, v8                     // addrVgpr = D + index*bytes (lo)
_v_addc_co_u32 v35, vcc, v3, v9, vcc               // addrVgpr = D + index*bytes (hi)
s_mov_b64 exec, -1                                 // full mask -1 -> exec
s_sleep 5 // optimization: sync and wait
s_barrier
v_accvgpr_read_b32 v[vgprValuC+20], acc0 // copy acc to vreg[0]
v_accvgpr_read_b32 v[vgprValuC+21], acc1 // copy acc to vreg[1]
v_accvgpr_read_b32 v[vgprValuC+22], acc8 // copy acc to vreg[2]
v_accvgpr_read_b32 v[vgprValuC+23], acc9 // copy acc to vreg[3]
v_accvgpr_read_b32 v[vgprValuC+28], acc16 // copy acc to vreg[4]
v_accvgpr_read_b32 v[vgprValuC+29], acc17 // copy acc to vreg[5]
v_accvgpr_read_b32 v[vgprValuC+30], acc24 // copy acc to vreg[6]
v_accvgpr_read_b32 v[vgprValuC+31], acc25 // copy acc to vreg[7]
v_accvgpr_read_b32 v[vgprValuC+40], acc32 // copy acc to vreg[8]
v_accvgpr_read_b32 v[vgprValuC+41], acc33 // copy acc to vreg[9]
v_accvgpr_read_b32 v[vgprValuC+42], acc40 // copy acc to vreg[10]
v_accvgpr_read_b32 v[vgprValuC+43], acc41 // copy acc to vreg[11]
v_accvgpr_read_b32 v[vgprValuC+48], acc48 // copy acc to vreg[12]
v_accvgpr_read_b32 v[vgprValuC+49], acc49 // copy acc to vreg[13]
v_accvgpr_read_b32 v[vgprValuC+50], acc56 // copy acc to vreg[14]
v_accvgpr_read_b32 v[vgprValuC+51], acc57 // copy acc to vreg[15]
s_nop 1                                            // 2 wait states required before reading vgpr

/* rC *= alpha batchElements=[(0, 0, 0, 0), (0, 1, 0, 0), (0, 2, 0, 0), (0, 3, 0, 0)] */
v_mul_f64 v[vgprValuC+20:vgprValuC+20+1], s[sgprAlpha:sgprAlpha+1], v[vgprValuC+20:vgprValuC+20+1] // *= alpha
v_mul_f64 v[vgprValuC+22:vgprValuC+22+1], s[sgprAlpha:sgprAlpha+1], v[vgprValuC+22:vgprValuC+22+1] // *= alpha
	;; [unrolled: 1-line block ×8, first 2 shown]
s_waitcnt vmcnt(0)                                 // wait C

/* apply mask, calc new C and issue writes */
s_mov_b64 exec, s[50:51]                           // sgprs -> exec
v_fma_f64 v[vgprValuC+20:vgprValuC+20+1], v[16:17], s[sgprBeta:sgprBeta+1], v[vgprValuC+20:vgprValuC+20+1] // finalSum = sum*alpha + C*beta
v_fma_f64 v[vgprValuC+22:vgprValuC+22+1], v[18:19], s[sgprBeta:sgprBeta+1], v[vgprValuC+22:vgprValuC+22+1] // finalSum = sum*alpha + C*beta
_global_store_b128 v[12:13], v[20:23], off,  sc0 sc1 // store D
s_mov_b64 exec, s[52:53]                           // sgprs -> exec
v_fma_f64 v[vgprValuC+28:vgprValuC+28+1], v[24:25], s[sgprBeta:sgprBeta+1], v[vgprValuC+28:vgprValuC+28+1] // finalSum = sum*alpha + C*beta
v_fma_f64 v[vgprValuC+30:vgprValuC+30+1], v[26:27], s[sgprBeta:sgprBeta+1], v[vgprValuC+30:vgprValuC+30+1] // finalSum = sum*alpha + C*beta
_global_store_b128 v[14:15], v[28:31], off,  sc0 sc1 // store D
	;; [unrolled: 4-line block ×4, first 2 shown]
s_mov_b64 exec, -1                                 // full mask -> exec
s_nop 0                                            // 1 wait state required when next inst writes vgprs held by previous dwordx4 store inst
/* optSingleColVgpr=0 optSharedColVgpr=0 optSGPRUsage=None optSrdIncForRow=0 */
s_sleep 5 // optimization: sync and wait
s_barrier

/******************************************/
/* Global Write Alpha Beta Edge Batch #1 (d1,d0,vc1,vc0) = */
/*    (0,4,0,0:vw2); (0,5,0,0:vw2); (0,6,0,0:vw2); (0,7,0,0:vw2) */
/******************************************/

/* calc coords, apply mask, and issue loads (if necessary) */
/* (d1,vc1,d0,vc0)=(0,0,4,0) */
s_mov_b32 s46, 512                                 // coordOffset0 d0=4 vc0=0
_v_add_co_u32 v6, vcc, v0, s46                     // coord0.2: coord0 += d0*sg0*VW + vc0
GLOBAL_OFFSET_C 12, 6, 1, sgprWorkGroup2, 8
v_mov_b32 v8, v12                                  // temp store offset 0
v_mov_b32 v9, v13                                  // temp store offset 1
v_cmp_lt_u32 s[46:47], v6, s[sgprSizesFree+0]      // coord0 < size0
v_cmp_lt_u32 s[48:49], v1, s[sgprSizesFree+1]      // coord1 < size1
s_and_b64 s[50:51], s[46:47], s[48:49]             // in0 && in1
s_mov_b64 exec, s[50:51]                           // sgprs -> exec
_v_add_co_u32 v12, vcc, v4, v8                     // addrVgpr = C + index*bytes (lo)
_v_addc_co_u32 v13, vcc, v5, v9, vcc               // addrVgpr = C + index*bytes (hi)
_global_load_b128 v[16:19], v[12:13], off, offset:0,  sc0 sc1 // load C for beta calc
GLOBAL_OFFSET_D 12, 6, 1, sgprWorkGroup2, 8
v_mov_b32 v8, v12                                  // temp store offset 0
v_mov_b32 v9, v13                                  // temp store offset 1
v_cmp_lt_u32 s[46:47], v6, s[sgprSizesFree+0]      // coord0 < size0
v_cmp_lt_u32 s[48:49], v1, s[sgprSizesFree+1]      // coord1 < size1
s_and_b64 s[50:51], s[46:47], s[48:49]             // in0 && in1
s_mov_b64 exec, s[50:51]                           // sgprs -> exec
_v_add_co_u32 v12, vcc, v2, v8                     // addrVgpr = D + index*bytes (lo)
_v_addc_co_u32 v13, vcc, v3, v9, vcc               // addrVgpr = D + index*bytes (hi)
s_mov_b64 exec, -1                                 // full mask -1 -> exec
/* (d1,vc1,d0,vc0)=(0,0,5,0) */
s_mov_b32 s46, 640                                 // coordOffset0 d0=5 vc0=0
_v_add_co_u32 v6, vcc, v0, s46                     // coord0.2: coord0 += d0*sg0*VW + vc0
GLOBAL_OFFSET_C 14, 6, 1, sgprWorkGroup2, 8
v_mov_b32 v8, v14                                  // temp store offset 0
v_mov_b32 v9, v15                                  // temp store offset 1
v_cmp_lt_u32 s[46:47], v6, s[sgprSizesFree+0]      // coord0 < size0
v_cmp_lt_u32 s[48:49], v1, s[sgprSizesFree+1]      // coord1 < size1
s_and_b64 s[52:53], s[46:47], s[48:49]             // in0 && in1
s_mov_b64 exec, s[52:53]                           // sgprs -> exec
_v_add_co_u32 v14, vcc, v4, v8                     // addrVgpr = C + index*bytes (lo)
_v_addc_co_u32 v15, vcc, v5, v9, vcc               // addrVgpr = C + index*bytes (hi)
_global_load_b128 v[24:27], v[14:15], off, offset:0,  sc0 sc1 // load C for beta calc
GLOBAL_OFFSET_D 14, 6, 1, sgprWorkGroup2, 8
v_mov_b32 v8, v14                                  // temp store offset 0
v_mov_b32 v9, v15                                  // temp store offset 1
v_cmp_lt_u32 s[46:47], v6, s[sgprSizesFree+0]      // coord0 < size0
v_cmp_lt_u32 s[48:49], v1, s[sgprSizesFree+1]      // coord1 < size1
s_and_b64 s[52:53], s[46:47], s[48:49]             // in0 && in1
s_mov_b64 exec, s[52:53]                           // sgprs -> exec
_v_add_co_u32 v14, vcc, v2, v8                     // addrVgpr = D + index*bytes (lo)
_v_addc_co_u32 v15, vcc, v3, v9, vcc               // addrVgpr = D + index*bytes (hi)
s_mov_b64 exec, -1                                 // full mask -1 -> exec
	;; [unrolled: 23-line block ×4, first 2 shown]
s_sleep 5 // optimization: sync and wait
s_barrier
v_accvgpr_read_b32 v[vgprValuC+20], acc64 // copy acc to vreg[16]
v_accvgpr_read_b32 v[vgprValuC+21], acc65 // copy acc to vreg[17]
v_accvgpr_read_b32 v[vgprValuC+22], acc72 // copy acc to vreg[18]
v_accvgpr_read_b32 v[vgprValuC+23], acc73 // copy acc to vreg[19]
v_accvgpr_read_b32 v[vgprValuC+28], acc80 // copy acc to vreg[20]
v_accvgpr_read_b32 v[vgprValuC+29], acc81 // copy acc to vreg[21]
v_accvgpr_read_b32 v[vgprValuC+30], acc88 // copy acc to vreg[22]
v_accvgpr_read_b32 v[vgprValuC+31], acc89 // copy acc to vreg[23]
v_accvgpr_read_b32 v[vgprValuC+40], acc96 // copy acc to vreg[24]
v_accvgpr_read_b32 v[vgprValuC+41], acc97 // copy acc to vreg[25]
v_accvgpr_read_b32 v[vgprValuC+42], acc104 // copy acc to vreg[26]
v_accvgpr_read_b32 v[vgprValuC+43], acc105 // copy acc to vreg[27]
v_accvgpr_read_b32 v[vgprValuC+48], acc112 // copy acc to vreg[28]
v_accvgpr_read_b32 v[vgprValuC+49], acc113 // copy acc to vreg[29]
v_accvgpr_read_b32 v[vgprValuC+50], acc120 // copy acc to vreg[30]
v_accvgpr_read_b32 v[vgprValuC+51], acc121 // copy acc to vreg[31]
s_nop 1                                            // 2 wait states required before reading vgpr

/* rC *= alpha batchElements=[(0, 4, 0, 0), (0, 5, 0, 0), (0, 6, 0, 0), (0, 7, 0, 0)] */
v_mul_f64 v[vgprValuC+20:vgprValuC+20+1], s[sgprAlpha:sgprAlpha+1], v[vgprValuC+20:vgprValuC+20+1] // *= alpha
v_mul_f64 v[vgprValuC+22:vgprValuC+22+1], s[sgprAlpha:sgprAlpha+1], v[vgprValuC+22:vgprValuC+22+1] // *= alpha
	;; [unrolled: 1-line block ×8, first 2 shown]
s_waitcnt vmcnt(0)                                 // wait C

/* apply mask, calc new C and issue writes */
s_mov_b64 exec, s[50:51]                           // sgprs -> exec
v_fma_f64 v[vgprValuC+20:vgprValuC+20+1], v[16:17], s[sgprBeta:sgprBeta+1], v[vgprValuC+20:vgprValuC+20+1] // finalSum = sum*alpha + C*beta
v_fma_f64 v[vgprValuC+22:vgprValuC+22+1], v[18:19], s[sgprBeta:sgprBeta+1], v[vgprValuC+22:vgprValuC+22+1] // finalSum = sum*alpha + C*beta
_global_store_b128 v[12:13], v[20:23], off,  sc0 sc1 // store D
s_mov_b64 exec, s[52:53]                           // sgprs -> exec
v_fma_f64 v[vgprValuC+28:vgprValuC+28+1], v[24:25], s[sgprBeta:sgprBeta+1], v[vgprValuC+28:vgprValuC+28+1] // finalSum = sum*alpha + C*beta
v_fma_f64 v[vgprValuC+30:vgprValuC+30+1], v[26:27], s[sgprBeta:sgprBeta+1], v[vgprValuC+30:vgprValuC+30+1] // finalSum = sum*alpha + C*beta
_global_store_b128 v[14:15], v[28:31], off,  sc0 sc1 // store D
	;; [unrolled: 4-line block ×4, first 2 shown]
s_mov_b64 exec, -1                                 // full mask -> exec
s_nop 0                                            // 1 wait state required when next inst writes vgprs held by previous dwordx4 store inst
/* optSingleColVgpr=0 optSharedColVgpr=0 optSGPRUsage=None optSrdIncForRow=0 */
s_sleep 5 // optimization: sync and wait
s_barrier

/******************************************/
/* Global Write Alpha Beta Edge Batch #2 (d1,d0,vc1,vc0) = */
/*    (1,0,0,0:vw2); (1,1,0,0:vw2); (1,2,0,0:vw2); (1,3,0,0:vw2) */
/******************************************/

/* calc coords, apply mask, and issue loads (if necessary) */
/* (d1,vc1,d0,vc0)=(1,0,0,0) */
_v_add_co_u32 v1, vcc, v1, 4                       // coord1.1: coord1Vgpr += d1*sg1*VW + vc1
GLOBAL_OFFSET_C 12, 0, 1, sgprWorkGroup2, 8
v_mov_b32 v8, v12                                  // temp store offset 0
v_mov_b32 v9, v13                                  // temp store offset 1
v_cmp_lt_u32 s[46:47], v0, s[sgprSizesFree+0]      // coord0 < size0
v_cmp_lt_u32 s[48:49], v1, s[sgprSizesFree+1]      // coord1 < size1
s_and_b64 s[50:51], s[46:47], s[48:49]             // in0 && in1
s_mov_b64 exec, s[50:51]                           // sgprs -> exec
_v_add_co_u32 v12, vcc, v4, v8                     // addrVgpr = C + index*bytes (lo)
_v_addc_co_u32 v13, vcc, v5, v9, vcc               // addrVgpr = C + index*bytes (hi)
_global_load_b128 v[16:19], v[12:13], off, offset:0,  sc0 sc1 // load C for beta calc
GLOBAL_OFFSET_D 12, 0, 1, sgprWorkGroup2, 8
v_mov_b32 v8, v12                                  // temp store offset 0
v_mov_b32 v9, v13                                  // temp store offset 1
v_cmp_lt_u32 s[46:47], v0, s[sgprSizesFree+0]      // coord0 < size0
v_cmp_lt_u32 s[48:49], v1, s[sgprSizesFree+1]      // coord1 < size1
s_and_b64 s[50:51], s[46:47], s[48:49]             // in0 && in1
s_mov_b64 exec, s[50:51]                           // sgprs -> exec
_v_add_co_u32 v12, vcc, v2, v8                     // addrVgpr = D + index*bytes (lo)
_v_addc_co_u32 v13, vcc, v3, v9, vcc               // addrVgpr = D + index*bytes (hi)
s_mov_b64 exec, -1                                 // full mask -1 -> exec
/* (d1,vc1,d0,vc0)=(1,0,1,0) */
s_mov_b32 s46, 128                                 // coordOffset0 d0=1 vc0=0
_v_add_co_u32 v6, vcc, v0, s46                     // coord0.2: coord0 += d0*sg0*VW + vc0
GLOBAL_OFFSET_C 14, 6, 1, sgprWorkGroup2, 8
v_mov_b32 v8, v14                                  // temp store offset 0
v_mov_b32 v9, v15                                  // temp store offset 1
v_cmp_lt_u32 s[46:47], v6, s[sgprSizesFree+0]      // coord0 < size0
v_cmp_lt_u32 s[48:49], v1, s[sgprSizesFree+1]      // coord1 < size1
s_and_b64 s[52:53], s[46:47], s[48:49]             // in0 && in1
s_mov_b64 exec, s[52:53]                           // sgprs -> exec
_v_add_co_u32 v14, vcc, v4, v8                     // addrVgpr = C + index*bytes (lo)
_v_addc_co_u32 v15, vcc, v5, v9, vcc               // addrVgpr = C + index*bytes (hi)
_global_load_b128 v[24:27], v[14:15], off, offset:0,  sc0 sc1 // load C for beta calc
GLOBAL_OFFSET_D 14, 6, 1, sgprWorkGroup2, 8
v_mov_b32 v8, v14                                  // temp store offset 0
v_mov_b32 v9, v15                                  // temp store offset 1
v_cmp_lt_u32 s[46:47], v6, s[sgprSizesFree+0]      // coord0 < size0
v_cmp_lt_u32 s[48:49], v1, s[sgprSizesFree+1]      // coord1 < size1
s_and_b64 s[52:53], s[46:47], s[48:49]             // in0 && in1
s_mov_b64 exec, s[52:53]                           // sgprs -> exec
_v_add_co_u32 v14, vcc, v2, v8                     // addrVgpr = D + index*bytes (lo)
_v_addc_co_u32 v15, vcc, v3, v9, vcc               // addrVgpr = D + index*bytes (hi)
s_mov_b64 exec, -1                                 // full mask -1 -> exec
/* (d1,vc1,d0,vc0)=(1,0,2,0) */
s_mov_b32 s46, 256                                 // coordOffset0 d0=2 vc0=0
_v_add_co_u32 v6, vcc, v0, s46                     // coord0.2: coord0 += d0*sg0*VW + vc0
	;; [unrolled: 23-line block ×3, first 2 shown]
GLOBAL_OFFSET_C 34, 6, 1, sgprWorkGroup2, 8
v_mov_b32 v8, v34                                  // temp store offset 0
v_mov_b32 v9, v35                                  // temp store offset 1
v_cmp_lt_u32 s[46:47], v6, s[sgprSizesFree+0]      // coord0 < size0
v_cmp_lt_u32 s[48:49], v1, s[sgprSizesFree+1]      // coord1 < size1
s_and_b64 s[56:57], s[46:47], s[48:49]             // in0 && in1
s_mov_b64 exec, s[56:57]                           // sgprs -> exec
_v_add_co_u32 v34, vcc, v4, v8                     // addrVgpr = C + index*bytes (lo)
_v_addc_co_u32 v35, vcc, v5, v9, vcc               // addrVgpr = C + index*bytes (hi)
_global_load_b128 v[44:47], v[34:35], off, offset:0,  sc0 sc1 // load C for beta calc
GLOBAL_OFFSET_D 34, 6, 1, sgprWorkGroup2, 8
v_mov_b32 v8, v34                                  // temp store offset 0
v_mov_b32 v9, v35                                  // temp store offset 1
v_cmp_lt_u32 s[46:47], v6, s[sgprSizesFree+0]      // coord0 < size0
v_cmp_lt_u32 s[48:49], v1, s[sgprSizesFree+1]      // coord1 < size1
s_and_b64 s[56:57], s[46:47], s[48:49]             // in0 && in1
s_mov_b64 exec, s[56:57]                           // sgprs -> exec
_v_add_co_u32 v34, vcc, v2, v8                     // addrVgpr = D + index*bytes (lo)
_v_addc_co_u32 v35, vcc, v3, v9, vcc               // addrVgpr = D + index*bytes (hi)
s_mov_b64 exec, -1                                 // full mask -1 -> exec
s_sleep 5 // optimization: sync and wait
s_barrier
v_accvgpr_read_b32 v[vgprValuC+20], acc2 // copy acc to vreg[32]
v_accvgpr_read_b32 v[vgprValuC+21], acc3 // copy acc to vreg[33]
v_accvgpr_read_b32 v[vgprValuC+22], acc10 // copy acc to vreg[34]
v_accvgpr_read_b32 v[vgprValuC+23], acc11 // copy acc to vreg[35]
v_accvgpr_read_b32 v[vgprValuC+28], acc18 // copy acc to vreg[36]
v_accvgpr_read_b32 v[vgprValuC+29], acc19 // copy acc to vreg[37]
v_accvgpr_read_b32 v[vgprValuC+30], acc26 // copy acc to vreg[38]
v_accvgpr_read_b32 v[vgprValuC+31], acc27 // copy acc to vreg[39]
v_accvgpr_read_b32 v[vgprValuC+40], acc34 // copy acc to vreg[40]
v_accvgpr_read_b32 v[vgprValuC+41], acc35 // copy acc to vreg[41]
v_accvgpr_read_b32 v[vgprValuC+42], acc42 // copy acc to vreg[42]
v_accvgpr_read_b32 v[vgprValuC+43], acc43 // copy acc to vreg[43]
v_accvgpr_read_b32 v[vgprValuC+48], acc50 // copy acc to vreg[44]
v_accvgpr_read_b32 v[vgprValuC+49], acc51 // copy acc to vreg[45]
v_accvgpr_read_b32 v[vgprValuC+50], acc58 // copy acc to vreg[46]
v_accvgpr_read_b32 v[vgprValuC+51], acc59 // copy acc to vreg[47]
s_nop 1                                            // 2 wait states required before reading vgpr

/* rC *= alpha batchElements=[(1, 0, 0, 0), (1, 1, 0, 0), (1, 2, 0, 0), (1, 3, 0, 0)] */
v_mul_f64 v[vgprValuC+20:vgprValuC+20+1], s[sgprAlpha:sgprAlpha+1], v[vgprValuC+20:vgprValuC+20+1] // *= alpha
v_mul_f64 v[vgprValuC+22:vgprValuC+22+1], s[sgprAlpha:sgprAlpha+1], v[vgprValuC+22:vgprValuC+22+1] // *= alpha
v_mul_f64 v[vgprValuC+28:vgprValuC+28+1], s[sgprAlpha:sgprAlpha+1], v[vgprValuC+28:vgprValuC+28+1] // *= alpha
v_mul_f64 v[vgprValuC+30:vgprValuC+30+1], s[sgprAlpha:sgprAlpha+1], v[vgprValuC+30:vgprValuC+30+1] // *= alpha
v_mul_f64 v[vgprValuC+40:vgprValuC+40+1], s[sgprAlpha:sgprAlpha+1], v[vgprValuC+40:vgprValuC+40+1] // *= alpha
v_mul_f64 v[vgprValuC+42:vgprValuC+42+1], s[sgprAlpha:sgprAlpha+1], v[vgprValuC+42:vgprValuC+42+1] // *= alpha
v_mul_f64 v[vgprValuC+48:vgprValuC+48+1], s[sgprAlpha:sgprAlpha+1], v[vgprValuC+48:vgprValuC+48+1] // *= alpha
v_mul_f64 v[vgprValuC+50:vgprValuC+50+1], s[sgprAlpha:sgprAlpha+1], v[vgprValuC+50:vgprValuC+50+1] // *= alpha
s_waitcnt vmcnt(0)                                 // wait C

/* apply mask, calc new C and issue writes */
s_mov_b64 exec, s[50:51]                           // sgprs -> exec
v_fma_f64 v[vgprValuC+20:vgprValuC+20+1], v[16:17], s[sgprBeta:sgprBeta+1], v[vgprValuC+20:vgprValuC+20+1] // finalSum = sum*alpha + C*beta
v_fma_f64 v[vgprValuC+22:vgprValuC+22+1], v[18:19], s[sgprBeta:sgprBeta+1], v[vgprValuC+22:vgprValuC+22+1] // finalSum = sum*alpha + C*beta
_global_store_b128 v[12:13], v[20:23], off,  sc0 sc1 // store D
s_mov_b64 exec, s[52:53]                           // sgprs -> exec
v_fma_f64 v[vgprValuC+28:vgprValuC+28+1], v[24:25], s[sgprBeta:sgprBeta+1], v[vgprValuC+28:vgprValuC+28+1] // finalSum = sum*alpha + C*beta
v_fma_f64 v[vgprValuC+30:vgprValuC+30+1], v[26:27], s[sgprBeta:sgprBeta+1], v[vgprValuC+30:vgprValuC+30+1] // finalSum = sum*alpha + C*beta
_global_store_b128 v[14:15], v[28:31], off,  sc0 sc1 // store D
s_mov_b64 exec, s[54:55]                           // sgprs -> exec
v_fma_f64 v[vgprValuC+40:vgprValuC+40+1], v[36:37], s[sgprBeta:sgprBeta+1], v[vgprValuC+40:vgprValuC+40+1] // finalSum = sum*alpha + C*beta
v_fma_f64 v[vgprValuC+42:vgprValuC+42+1], v[38:39], s[sgprBeta:sgprBeta+1], v[vgprValuC+42:vgprValuC+42+1] // finalSum = sum*alpha + C*beta
_global_store_b128 v[32:33], v[40:43], off,  sc0 sc1 // store D
s_mov_b64 exec, s[56:57]                           // sgprs -> exec
v_fma_f64 v[vgprValuC+48:vgprValuC+48+1], v[44:45], s[sgprBeta:sgprBeta+1], v[vgprValuC+48:vgprValuC+48+1] // finalSum = sum*alpha + C*beta
v_fma_f64 v[vgprValuC+50:vgprValuC+50+1], v[46:47], s[sgprBeta:sgprBeta+1], v[vgprValuC+50:vgprValuC+50+1] // finalSum = sum*alpha + C*beta
_global_store_b128 v[34:35], v[48:51], off,  sc0 sc1 // store D
s_mov_b64 exec, -1                                 // full mask -> exec
s_nop 0                                            // 1 wait state required when next inst writes vgprs held by previous dwordx4 store inst
/* optSingleColVgpr=0 optSharedColVgpr=0 optSGPRUsage=None optSrdIncForRow=0 */
s_sleep 5 // optimization: sync and wait
s_barrier

/******************************************/
/* Global Write Alpha Beta Edge Batch #3 (d1,d0,vc1,vc0) = */
/*    (1,4,0,0:vw2); (1,5,0,0:vw2); (1,6,0,0:vw2); (1,7,0,0:vw2) */
/******************************************/

/* calc coords, apply mask, and issue loads (if necessary) */
/* (d1,vc1,d0,vc0)=(1,0,4,0) */
s_mov_b32 s46, 512                                 // coordOffset0 d0=4 vc0=0
_v_add_co_u32 v6, vcc, v0, s46                     // coord0.2: coord0 += d0*sg0*VW + vc0
GLOBAL_OFFSET_C 12, 6, 1, sgprWorkGroup2, 8
v_mov_b32 v8, v12                                  // temp store offset 0
v_mov_b32 v9, v13                                  // temp store offset 1
v_cmp_lt_u32 s[46:47], v6, s[sgprSizesFree+0]      // coord0 < size0
v_cmp_lt_u32 s[48:49], v1, s[sgprSizesFree+1]      // coord1 < size1
s_and_b64 s[50:51], s[46:47], s[48:49]             // in0 && in1
s_mov_b64 exec, s[50:51]                           // sgprs -> exec
_v_add_co_u32 v12, vcc, v4, v8                     // addrVgpr = C + index*bytes (lo)
_v_addc_co_u32 v13, vcc, v5, v9, vcc               // addrVgpr = C + index*bytes (hi)
_global_load_b128 v[16:19], v[12:13], off, offset:0,  sc0 sc1 // load C for beta calc
GLOBAL_OFFSET_D 12, 6, 1, sgprWorkGroup2, 8
v_mov_b32 v8, v12                                  // temp store offset 0
v_mov_b32 v9, v13                                  // temp store offset 1
v_cmp_lt_u32 s[46:47], v6, s[sgprSizesFree+0]      // coord0 < size0
v_cmp_lt_u32 s[48:49], v1, s[sgprSizesFree+1]      // coord1 < size1
s_and_b64 s[50:51], s[46:47], s[48:49]             // in0 && in1
s_mov_b64 exec, s[50:51]                           // sgprs -> exec
_v_add_co_u32 v12, vcc, v2, v8                     // addrVgpr = D + index*bytes (lo)
_v_addc_co_u32 v13, vcc, v3, v9, vcc               // addrVgpr = D + index*bytes (hi)
s_mov_b64 exec, -1                                 // full mask -1 -> exec
/* (d1,vc1,d0,vc0)=(1,0,5,0) */
s_mov_b32 s46, 640                                 // coordOffset0 d0=5 vc0=0
_v_add_co_u32 v6, vcc, v0, s46                     // coord0.2: coord0 += d0*sg0*VW + vc0
GLOBAL_OFFSET_C 14, 6, 1, sgprWorkGroup2, 8
v_mov_b32 v8, v14                                  // temp store offset 0
v_mov_b32 v9, v15                                  // temp store offset 1
v_cmp_lt_u32 s[46:47], v6, s[sgprSizesFree+0]      // coord0 < size0
v_cmp_lt_u32 s[48:49], v1, s[sgprSizesFree+1]      // coord1 < size1
s_and_b64 s[52:53], s[46:47], s[48:49]             // in0 && in1
s_mov_b64 exec, s[52:53]                           // sgprs -> exec
_v_add_co_u32 v14, vcc, v4, v8                     // addrVgpr = C + index*bytes (lo)
_v_addc_co_u32 v15, vcc, v5, v9, vcc               // addrVgpr = C + index*bytes (hi)
_global_load_b128 v[24:27], v[14:15], off, offset:0,  sc0 sc1 // load C for beta calc
GLOBAL_OFFSET_D 14, 6, 1, sgprWorkGroup2, 8
v_mov_b32 v8, v14                                  // temp store offset 0
v_mov_b32 v9, v15                                  // temp store offset 1
v_cmp_lt_u32 s[46:47], v6, s[sgprSizesFree+0]      // coord0 < size0
v_cmp_lt_u32 s[48:49], v1, s[sgprSizesFree+1]      // coord1 < size1
s_and_b64 s[52:53], s[46:47], s[48:49]             // in0 && in1
s_mov_b64 exec, s[52:53]                           // sgprs -> exec
_v_add_co_u32 v14, vcc, v2, v8                     // addrVgpr = D + index*bytes (lo)
_v_addc_co_u32 v15, vcc, v3, v9, vcc               // addrVgpr = D + index*bytes (hi)
s_mov_b64 exec, -1                                 // full mask -1 -> exec
	;; [unrolled: 23-line block ×4, first 2 shown]
s_sleep 5 // optimization: sync and wait
s_barrier
v_accvgpr_read_b32 v[vgprValuC+20], acc66 // copy acc to vreg[48]
v_accvgpr_read_b32 v[vgprValuC+21], acc67 // copy acc to vreg[49]
v_accvgpr_read_b32 v[vgprValuC+22], acc74 // copy acc to vreg[50]
v_accvgpr_read_b32 v[vgprValuC+23], acc75 // copy acc to vreg[51]
v_accvgpr_read_b32 v[vgprValuC+28], acc82 // copy acc to vreg[52]
v_accvgpr_read_b32 v[vgprValuC+29], acc83 // copy acc to vreg[53]
v_accvgpr_read_b32 v[vgprValuC+30], acc90 // copy acc to vreg[54]
v_accvgpr_read_b32 v[vgprValuC+31], acc91 // copy acc to vreg[55]
v_accvgpr_read_b32 v[vgprValuC+40], acc98 // copy acc to vreg[56]
v_accvgpr_read_b32 v[vgprValuC+41], acc99 // copy acc to vreg[57]
v_accvgpr_read_b32 v[vgprValuC+42], acc106 // copy acc to vreg[58]
v_accvgpr_read_b32 v[vgprValuC+43], acc107 // copy acc to vreg[59]
v_accvgpr_read_b32 v[vgprValuC+48], acc114 // copy acc to vreg[60]
v_accvgpr_read_b32 v[vgprValuC+49], acc115 // copy acc to vreg[61]
v_accvgpr_read_b32 v[vgprValuC+50], acc122 // copy acc to vreg[62]
v_accvgpr_read_b32 v[vgprValuC+51], acc123 // copy acc to vreg[63]
s_nop 1                                            // 2 wait states required before reading vgpr

/* rC *= alpha batchElements=[(1, 4, 0, 0), (1, 5, 0, 0), (1, 6, 0, 0), (1, 7, 0, 0)] */
v_mul_f64 v[vgprValuC+20:vgprValuC+20+1], s[sgprAlpha:sgprAlpha+1], v[vgprValuC+20:vgprValuC+20+1] // *= alpha
v_mul_f64 v[vgprValuC+22:vgprValuC+22+1], s[sgprAlpha:sgprAlpha+1], v[vgprValuC+22:vgprValuC+22+1] // *= alpha
	;; [unrolled: 1-line block ×8, first 2 shown]
s_waitcnt vmcnt(0)                                 // wait C

/* apply mask, calc new C and issue writes */
s_mov_b64 exec, s[50:51]                           // sgprs -> exec
v_fma_f64 v[vgprValuC+20:vgprValuC+20+1], v[16:17], s[sgprBeta:sgprBeta+1], v[vgprValuC+20:vgprValuC+20+1] // finalSum = sum*alpha + C*beta
v_fma_f64 v[vgprValuC+22:vgprValuC+22+1], v[18:19], s[sgprBeta:sgprBeta+1], v[vgprValuC+22:vgprValuC+22+1] // finalSum = sum*alpha + C*beta
_global_store_b128 v[12:13], v[20:23], off,  sc0 sc1 // store D
s_mov_b64 exec, s[52:53]                           // sgprs -> exec
v_fma_f64 v[vgprValuC+28:vgprValuC+28+1], v[24:25], s[sgprBeta:sgprBeta+1], v[vgprValuC+28:vgprValuC+28+1] // finalSum = sum*alpha + C*beta
v_fma_f64 v[vgprValuC+30:vgprValuC+30+1], v[26:27], s[sgprBeta:sgprBeta+1], v[vgprValuC+30:vgprValuC+30+1] // finalSum = sum*alpha + C*beta
_global_store_b128 v[14:15], v[28:31], off,  sc0 sc1 // store D
	;; [unrolled: 4-line block ×4, first 2 shown]
s_mov_b64 exec, -1                                 // full mask -> exec
s_nop 0                                            // 1 wait state required when next inst writes vgprs held by previous dwordx4 store inst
/* optSingleColVgpr=0 optSharedColVgpr=0 optSGPRUsage=None optSrdIncForRow=0 */
s_sleep 5 // optimization: sync and wait
s_barrier

/******************************************/
/* Global Write Alpha Beta Edge Batch #4 (d1,d0,vc1,vc0) = */
/*    (2,0,0,0:vw2); (2,1,0,0:vw2); (2,2,0,0:vw2); (2,3,0,0:vw2) */
/******************************************/

/* calc coords, apply mask, and issue loads (if necessary) */
/* (d1,vc1,d0,vc0)=(2,0,0,0) */
_v_add_co_u32 v1, vcc, v1, 4                       // coord1.1: coord1Vgpr += d1*sg1*VW + vc1
GLOBAL_OFFSET_C 12, 0, 1, sgprWorkGroup2, 8
v_mov_b32 v8, v12                                  // temp store offset 0
v_mov_b32 v9, v13                                  // temp store offset 1
v_cmp_lt_u32 s[46:47], v0, s[sgprSizesFree+0]      // coord0 < size0
v_cmp_lt_u32 s[48:49], v1, s[sgprSizesFree+1]      // coord1 < size1
s_and_b64 s[50:51], s[46:47], s[48:49]             // in0 && in1
s_mov_b64 exec, s[50:51]                           // sgprs -> exec
_v_add_co_u32 v12, vcc, v4, v8                     // addrVgpr = C + index*bytes (lo)
_v_addc_co_u32 v13, vcc, v5, v9, vcc               // addrVgpr = C + index*bytes (hi)
_global_load_b128 v[16:19], v[12:13], off, offset:0,  sc0 sc1 // load C for beta calc
GLOBAL_OFFSET_D 12, 0, 1, sgprWorkGroup2, 8
v_mov_b32 v8, v12                                  // temp store offset 0
v_mov_b32 v9, v13                                  // temp store offset 1
v_cmp_lt_u32 s[46:47], v0, s[sgprSizesFree+0]      // coord0 < size0
v_cmp_lt_u32 s[48:49], v1, s[sgprSizesFree+1]      // coord1 < size1
s_and_b64 s[50:51], s[46:47], s[48:49]             // in0 && in1
s_mov_b64 exec, s[50:51]                           // sgprs -> exec
_v_add_co_u32 v12, vcc, v2, v8                     // addrVgpr = D + index*bytes (lo)
_v_addc_co_u32 v13, vcc, v3, v9, vcc               // addrVgpr = D + index*bytes (hi)
s_mov_b64 exec, -1                                 // full mask -1 -> exec
/* (d1,vc1,d0,vc0)=(2,0,1,0) */
s_mov_b32 s46, 128                                 // coordOffset0 d0=1 vc0=0
_v_add_co_u32 v6, vcc, v0, s46                     // coord0.2: coord0 += d0*sg0*VW + vc0
GLOBAL_OFFSET_C 14, 6, 1, sgprWorkGroup2, 8
v_mov_b32 v8, v14                                  // temp store offset 0
v_mov_b32 v9, v15                                  // temp store offset 1
v_cmp_lt_u32 s[46:47], v6, s[sgprSizesFree+0]      // coord0 < size0
v_cmp_lt_u32 s[48:49], v1, s[sgprSizesFree+1]      // coord1 < size1
s_and_b64 s[52:53], s[46:47], s[48:49]             // in0 && in1
s_mov_b64 exec, s[52:53]                           // sgprs -> exec
_v_add_co_u32 v14, vcc, v4, v8                     // addrVgpr = C + index*bytes (lo)
_v_addc_co_u32 v15, vcc, v5, v9, vcc               // addrVgpr = C + index*bytes (hi)
_global_load_b128 v[24:27], v[14:15], off, offset:0,  sc0 sc1 // load C for beta calc
GLOBAL_OFFSET_D 14, 6, 1, sgprWorkGroup2, 8
v_mov_b32 v8, v14                                  // temp store offset 0
v_mov_b32 v9, v15                                  // temp store offset 1
v_cmp_lt_u32 s[46:47], v6, s[sgprSizesFree+0]      // coord0 < size0
v_cmp_lt_u32 s[48:49], v1, s[sgprSizesFree+1]      // coord1 < size1
s_and_b64 s[52:53], s[46:47], s[48:49]             // in0 && in1
s_mov_b64 exec, s[52:53]                           // sgprs -> exec
_v_add_co_u32 v14, vcc, v2, v8                     // addrVgpr = D + index*bytes (lo)
_v_addc_co_u32 v15, vcc, v3, v9, vcc               // addrVgpr = D + index*bytes (hi)
s_mov_b64 exec, -1                                 // full mask -1 -> exec
/* (d1,vc1,d0,vc0)=(2,0,2,0) */
s_mov_b32 s46, 256                                 // coordOffset0 d0=2 vc0=0
_v_add_co_u32 v6, vcc, v0, s46                     // coord0.2: coord0 += d0*sg0*VW + vc0
	;; [unrolled: 23-line block ×3, first 2 shown]
GLOBAL_OFFSET_C 34, 6, 1, sgprWorkGroup2, 8
v_mov_b32 v8, v34                                  // temp store offset 0
v_mov_b32 v9, v35                                  // temp store offset 1
v_cmp_lt_u32 s[46:47], v6, s[sgprSizesFree+0]      // coord0 < size0
v_cmp_lt_u32 s[48:49], v1, s[sgprSizesFree+1]      // coord1 < size1
s_and_b64 s[56:57], s[46:47], s[48:49]             // in0 && in1
s_mov_b64 exec, s[56:57]                           // sgprs -> exec
_v_add_co_u32 v34, vcc, v4, v8                     // addrVgpr = C + index*bytes (lo)
_v_addc_co_u32 v35, vcc, v5, v9, vcc               // addrVgpr = C + index*bytes (hi)
_global_load_b128 v[44:47], v[34:35], off, offset:0,  sc0 sc1 // load C for beta calc
GLOBAL_OFFSET_D 34, 6, 1, sgprWorkGroup2, 8
v_mov_b32 v8, v34                                  // temp store offset 0
v_mov_b32 v9, v35                                  // temp store offset 1
v_cmp_lt_u32 s[46:47], v6, s[sgprSizesFree+0]      // coord0 < size0
v_cmp_lt_u32 s[48:49], v1, s[sgprSizesFree+1]      // coord1 < size1
s_and_b64 s[56:57], s[46:47], s[48:49]             // in0 && in1
s_mov_b64 exec, s[56:57]                           // sgprs -> exec
_v_add_co_u32 v34, vcc, v2, v8                     // addrVgpr = D + index*bytes (lo)
_v_addc_co_u32 v35, vcc, v3, v9, vcc               // addrVgpr = D + index*bytes (hi)
s_mov_b64 exec, -1                                 // full mask -1 -> exec
s_sleep 5 // optimization: sync and wait
s_barrier
v_accvgpr_read_b32 v[vgprValuC+20], acc4 // copy acc to vreg[64]
v_accvgpr_read_b32 v[vgprValuC+21], acc5 // copy acc to vreg[65]
v_accvgpr_read_b32 v[vgprValuC+22], acc12 // copy acc to vreg[66]
v_accvgpr_read_b32 v[vgprValuC+23], acc13 // copy acc to vreg[67]
v_accvgpr_read_b32 v[vgprValuC+28], acc20 // copy acc to vreg[68]
v_accvgpr_read_b32 v[vgprValuC+29], acc21 // copy acc to vreg[69]
v_accvgpr_read_b32 v[vgprValuC+30], acc28 // copy acc to vreg[70]
v_accvgpr_read_b32 v[vgprValuC+31], acc29 // copy acc to vreg[71]
v_accvgpr_read_b32 v[vgprValuC+40], acc36 // copy acc to vreg[72]
v_accvgpr_read_b32 v[vgprValuC+41], acc37 // copy acc to vreg[73]
v_accvgpr_read_b32 v[vgprValuC+42], acc44 // copy acc to vreg[74]
v_accvgpr_read_b32 v[vgprValuC+43], acc45 // copy acc to vreg[75]
v_accvgpr_read_b32 v[vgprValuC+48], acc52 // copy acc to vreg[76]
v_accvgpr_read_b32 v[vgprValuC+49], acc53 // copy acc to vreg[77]
v_accvgpr_read_b32 v[vgprValuC+50], acc60 // copy acc to vreg[78]
v_accvgpr_read_b32 v[vgprValuC+51], acc61 // copy acc to vreg[79]
s_nop 1                                            // 2 wait states required before reading vgpr

/* rC *= alpha batchElements=[(2, 0, 0, 0), (2, 1, 0, 0), (2, 2, 0, 0), (2, 3, 0, 0)] */
v_mul_f64 v[vgprValuC+20:vgprValuC+20+1], s[sgprAlpha:sgprAlpha+1], v[vgprValuC+20:vgprValuC+20+1] // *= alpha
v_mul_f64 v[vgprValuC+22:vgprValuC+22+1], s[sgprAlpha:sgprAlpha+1], v[vgprValuC+22:vgprValuC+22+1] // *= alpha
	;; [unrolled: 1-line block ×8, first 2 shown]
s_waitcnt vmcnt(0)                                 // wait C

/* apply mask, calc new C and issue writes */
s_mov_b64 exec, s[50:51]                           // sgprs -> exec
v_fma_f64 v[vgprValuC+20:vgprValuC+20+1], v[16:17], s[sgprBeta:sgprBeta+1], v[vgprValuC+20:vgprValuC+20+1] // finalSum = sum*alpha + C*beta
v_fma_f64 v[vgprValuC+22:vgprValuC+22+1], v[18:19], s[sgprBeta:sgprBeta+1], v[vgprValuC+22:vgprValuC+22+1] // finalSum = sum*alpha + C*beta
_global_store_b128 v[12:13], v[20:23], off,  sc0 sc1 // store D
s_mov_b64 exec, s[52:53]                           // sgprs -> exec
v_fma_f64 v[vgprValuC+28:vgprValuC+28+1], v[24:25], s[sgprBeta:sgprBeta+1], v[vgprValuC+28:vgprValuC+28+1] // finalSum = sum*alpha + C*beta
v_fma_f64 v[vgprValuC+30:vgprValuC+30+1], v[26:27], s[sgprBeta:sgprBeta+1], v[vgprValuC+30:vgprValuC+30+1] // finalSum = sum*alpha + C*beta
_global_store_b128 v[14:15], v[28:31], off,  sc0 sc1 // store D
	;; [unrolled: 4-line block ×4, first 2 shown]
s_mov_b64 exec, -1                                 // full mask -> exec
s_nop 0                                            // 1 wait state required when next inst writes vgprs held by previous dwordx4 store inst
/* optSingleColVgpr=0 optSharedColVgpr=0 optSGPRUsage=None optSrdIncForRow=0 */
s_sleep 5 // optimization: sync and wait
s_barrier

/******************************************/
/* Global Write Alpha Beta Edge Batch #5 (d1,d0,vc1,vc0) = */
/*    (2,4,0,0:vw2); (2,5,0,0:vw2); (2,6,0,0:vw2); (2,7,0,0:vw2) */
/******************************************/

/* calc coords, apply mask, and issue loads (if necessary) */
/* (d1,vc1,d0,vc0)=(2,0,4,0) */
s_mov_b32 s46, 512                                 // coordOffset0 d0=4 vc0=0
_v_add_co_u32 v6, vcc, v0, s46                     // coord0.2: coord0 += d0*sg0*VW + vc0
GLOBAL_OFFSET_C 12, 6, 1, sgprWorkGroup2, 8
v_mov_b32 v8, v12                                  // temp store offset 0
v_mov_b32 v9, v13                                  // temp store offset 1
v_cmp_lt_u32 s[46:47], v6, s[sgprSizesFree+0]      // coord0 < size0
v_cmp_lt_u32 s[48:49], v1, s[sgprSizesFree+1]      // coord1 < size1
s_and_b64 s[50:51], s[46:47], s[48:49]             // in0 && in1
s_mov_b64 exec, s[50:51]                           // sgprs -> exec
_v_add_co_u32 v12, vcc, v4, v8                     // addrVgpr = C + index*bytes (lo)
_v_addc_co_u32 v13, vcc, v5, v9, vcc               // addrVgpr = C + index*bytes (hi)
_global_load_b128 v[16:19], v[12:13], off, offset:0,  sc0 sc1 // load C for beta calc
GLOBAL_OFFSET_D 12, 6, 1, sgprWorkGroup2, 8
v_mov_b32 v8, v12                                  // temp store offset 0
v_mov_b32 v9, v13                                  // temp store offset 1
v_cmp_lt_u32 s[46:47], v6, s[sgprSizesFree+0]      // coord0 < size0
v_cmp_lt_u32 s[48:49], v1, s[sgprSizesFree+1]      // coord1 < size1
s_and_b64 s[50:51], s[46:47], s[48:49]             // in0 && in1
s_mov_b64 exec, s[50:51]                           // sgprs -> exec
_v_add_co_u32 v12, vcc, v2, v8                     // addrVgpr = D + index*bytes (lo)
_v_addc_co_u32 v13, vcc, v3, v9, vcc               // addrVgpr = D + index*bytes (hi)
s_mov_b64 exec, -1                                 // full mask -1 -> exec
/* (d1,vc1,d0,vc0)=(2,0,5,0) */
s_mov_b32 s46, 640                                 // coordOffset0 d0=5 vc0=0
_v_add_co_u32 v6, vcc, v0, s46                     // coord0.2: coord0 += d0*sg0*VW + vc0
GLOBAL_OFFSET_C 14, 6, 1, sgprWorkGroup2, 8
v_mov_b32 v8, v14                                  // temp store offset 0
v_mov_b32 v9, v15                                  // temp store offset 1
v_cmp_lt_u32 s[46:47], v6, s[sgprSizesFree+0]      // coord0 < size0
v_cmp_lt_u32 s[48:49], v1, s[sgprSizesFree+1]      // coord1 < size1
s_and_b64 s[52:53], s[46:47], s[48:49]             // in0 && in1
s_mov_b64 exec, s[52:53]                           // sgprs -> exec
_v_add_co_u32 v14, vcc, v4, v8                     // addrVgpr = C + index*bytes (lo)
_v_addc_co_u32 v15, vcc, v5, v9, vcc               // addrVgpr = C + index*bytes (hi)
_global_load_b128 v[24:27], v[14:15], off, offset:0,  sc0 sc1 // load C for beta calc
GLOBAL_OFFSET_D 14, 6, 1, sgprWorkGroup2, 8
v_mov_b32 v8, v14                                  // temp store offset 0
v_mov_b32 v9, v15                                  // temp store offset 1
v_cmp_lt_u32 s[46:47], v6, s[sgprSizesFree+0]      // coord0 < size0
v_cmp_lt_u32 s[48:49], v1, s[sgprSizesFree+1]      // coord1 < size1
s_and_b64 s[52:53], s[46:47], s[48:49]             // in0 && in1
s_mov_b64 exec, s[52:53]                           // sgprs -> exec
_v_add_co_u32 v14, vcc, v2, v8                     // addrVgpr = D + index*bytes (lo)
_v_addc_co_u32 v15, vcc, v3, v9, vcc               // addrVgpr = D + index*bytes (hi)
s_mov_b64 exec, -1                                 // full mask -1 -> exec
	;; [unrolled: 23-line block ×4, first 2 shown]
s_sleep 5 // optimization: sync and wait
s_barrier
v_accvgpr_read_b32 v[vgprValuC+20], acc68 // copy acc to vreg[80]
v_accvgpr_read_b32 v[vgprValuC+21], acc69 // copy acc to vreg[81]
v_accvgpr_read_b32 v[vgprValuC+22], acc76 // copy acc to vreg[82]
v_accvgpr_read_b32 v[vgprValuC+23], acc77 // copy acc to vreg[83]
v_accvgpr_read_b32 v[vgprValuC+28], acc84 // copy acc to vreg[84]
v_accvgpr_read_b32 v[vgprValuC+29], acc85 // copy acc to vreg[85]
v_accvgpr_read_b32 v[vgprValuC+30], acc92 // copy acc to vreg[86]
v_accvgpr_read_b32 v[vgprValuC+31], acc93 // copy acc to vreg[87]
v_accvgpr_read_b32 v[vgprValuC+40], acc100 // copy acc to vreg[88]
v_accvgpr_read_b32 v[vgprValuC+41], acc101 // copy acc to vreg[89]
v_accvgpr_read_b32 v[vgprValuC+42], acc108 // copy acc to vreg[90]
v_accvgpr_read_b32 v[vgprValuC+43], acc109 // copy acc to vreg[91]
v_accvgpr_read_b32 v[vgprValuC+48], acc116 // copy acc to vreg[92]
v_accvgpr_read_b32 v[vgprValuC+49], acc117 // copy acc to vreg[93]
v_accvgpr_read_b32 v[vgprValuC+50], acc124 // copy acc to vreg[94]
v_accvgpr_read_b32 v[vgprValuC+51], acc125 // copy acc to vreg[95]
s_nop 1                                            // 2 wait states required before reading vgpr

/* rC *= alpha batchElements=[(2, 4, 0, 0), (2, 5, 0, 0), (2, 6, 0, 0), (2, 7, 0, 0)] */
v_mul_f64 v[vgprValuC+20:vgprValuC+20+1], s[sgprAlpha:sgprAlpha+1], v[vgprValuC+20:vgprValuC+20+1] // *= alpha
v_mul_f64 v[vgprValuC+22:vgprValuC+22+1], s[sgprAlpha:sgprAlpha+1], v[vgprValuC+22:vgprValuC+22+1] // *= alpha
	;; [unrolled: 1-line block ×8, first 2 shown]
s_waitcnt vmcnt(0)                                 // wait C

/* apply mask, calc new C and issue writes */
s_mov_b64 exec, s[50:51]                           // sgprs -> exec
v_fma_f64 v[vgprValuC+20:vgprValuC+20+1], v[16:17], s[sgprBeta:sgprBeta+1], v[vgprValuC+20:vgprValuC+20+1] // finalSum = sum*alpha + C*beta
v_fma_f64 v[vgprValuC+22:vgprValuC+22+1], v[18:19], s[sgprBeta:sgprBeta+1], v[vgprValuC+22:vgprValuC+22+1] // finalSum = sum*alpha + C*beta
_global_store_b128 v[12:13], v[20:23], off,  sc0 sc1 // store D
s_mov_b64 exec, s[52:53]                           // sgprs -> exec
v_fma_f64 v[vgprValuC+28:vgprValuC+28+1], v[24:25], s[sgprBeta:sgprBeta+1], v[vgprValuC+28:vgprValuC+28+1] // finalSum = sum*alpha + C*beta
v_fma_f64 v[vgprValuC+30:vgprValuC+30+1], v[26:27], s[sgprBeta:sgprBeta+1], v[vgprValuC+30:vgprValuC+30+1] // finalSum = sum*alpha + C*beta
_global_store_b128 v[14:15], v[28:31], off,  sc0 sc1 // store D
s_mov_b64 exec, s[54:55]                           // sgprs -> exec
v_fma_f64 v[vgprValuC+40:vgprValuC+40+1], v[36:37], s[sgprBeta:sgprBeta+1], v[vgprValuC+40:vgprValuC+40+1] // finalSum = sum*alpha + C*beta
v_fma_f64 v[vgprValuC+42:vgprValuC+42+1], v[38:39], s[sgprBeta:sgprBeta+1], v[vgprValuC+42:vgprValuC+42+1] // finalSum = sum*alpha + C*beta
_global_store_b128 v[32:33], v[40:43], off,  sc0 sc1 // store D
s_mov_b64 exec, s[56:57]                           // sgprs -> exec
v_fma_f64 v[vgprValuC+48:vgprValuC+48+1], v[44:45], s[sgprBeta:sgprBeta+1], v[vgprValuC+48:vgprValuC+48+1] // finalSum = sum*alpha + C*beta
v_fma_f64 v[vgprValuC+50:vgprValuC+50+1], v[46:47], s[sgprBeta:sgprBeta+1], v[vgprValuC+50:vgprValuC+50+1] // finalSum = sum*alpha + C*beta
_global_store_b128 v[34:35], v[48:51], off,  sc0 sc1 // store D
s_mov_b64 exec, -1                                 // full mask -> exec
s_nop 0                                            // 1 wait state required when next inst writes vgprs held by previous dwordx4 store inst
/* optSingleColVgpr=0 optSharedColVgpr=0 optSGPRUsage=None optSrdIncForRow=0 */
s_sleep 5 // optimization: sync and wait
s_barrier

/******************************************/
/* Global Write Alpha Beta Edge Batch #6 (d1,d0,vc1,vc0) = */
/*    (3,0,0,0:vw2); (3,1,0,0:vw2); (3,2,0,0:vw2); (3,3,0,0:vw2) */
/******************************************/

/* calc coords, apply mask, and issue loads (if necessary) */
/* (d1,vc1,d0,vc0)=(3,0,0,0) */
_v_add_co_u32 v1, vcc, v1, 4                       // coord1.1: coord1Vgpr += d1*sg1*VW + vc1
GLOBAL_OFFSET_C 12, 0, 1, sgprWorkGroup2, 8
v_mov_b32 v8, v12                                  // temp store offset 0
v_mov_b32 v9, v13                                  // temp store offset 1
v_cmp_lt_u32 s[46:47], v0, s[sgprSizesFree+0]      // coord0 < size0
v_cmp_lt_u32 s[48:49], v1, s[sgprSizesFree+1]      // coord1 < size1
s_and_b64 s[50:51], s[46:47], s[48:49]             // in0 && in1
s_mov_b64 exec, s[50:51]                           // sgprs -> exec
_v_add_co_u32 v12, vcc, v4, v8                     // addrVgpr = C + index*bytes (lo)
_v_addc_co_u32 v13, vcc, v5, v9, vcc               // addrVgpr = C + index*bytes (hi)
_global_load_b128 v[16:19], v[12:13], off, offset:0,  sc0 sc1 // load C for beta calc
GLOBAL_OFFSET_D 12, 0, 1, sgprWorkGroup2, 8
v_mov_b32 v8, v12                                  // temp store offset 0
v_mov_b32 v9, v13                                  // temp store offset 1
v_cmp_lt_u32 s[46:47], v0, s[sgprSizesFree+0]      // coord0 < size0
v_cmp_lt_u32 s[48:49], v1, s[sgprSizesFree+1]      // coord1 < size1
s_and_b64 s[50:51], s[46:47], s[48:49]             // in0 && in1
s_mov_b64 exec, s[50:51]                           // sgprs -> exec
_v_add_co_u32 v12, vcc, v2, v8                     // addrVgpr = D + index*bytes (lo)
_v_addc_co_u32 v13, vcc, v3, v9, vcc               // addrVgpr = D + index*bytes (hi)
s_mov_b64 exec, -1                                 // full mask -1 -> exec
/* (d1,vc1,d0,vc0)=(3,0,1,0) */
s_mov_b32 s46, 128                                 // coordOffset0 d0=1 vc0=0
_v_add_co_u32 v6, vcc, v0, s46                     // coord0.2: coord0 += d0*sg0*VW + vc0
GLOBAL_OFFSET_C 14, 6, 1, sgprWorkGroup2, 8
v_mov_b32 v8, v14                                  // temp store offset 0
v_mov_b32 v9, v15                                  // temp store offset 1
v_cmp_lt_u32 s[46:47], v6, s[sgprSizesFree+0]      // coord0 < size0
v_cmp_lt_u32 s[48:49], v1, s[sgprSizesFree+1]      // coord1 < size1
s_and_b64 s[52:53], s[46:47], s[48:49]             // in0 && in1
s_mov_b64 exec, s[52:53]                           // sgprs -> exec
_v_add_co_u32 v14, vcc, v4, v8                     // addrVgpr = C + index*bytes (lo)
_v_addc_co_u32 v15, vcc, v5, v9, vcc               // addrVgpr = C + index*bytes (hi)
_global_load_b128 v[24:27], v[14:15], off, offset:0,  sc0 sc1 // load C for beta calc
GLOBAL_OFFSET_D 14, 6, 1, sgprWorkGroup2, 8
v_mov_b32 v8, v14                                  // temp store offset 0
v_mov_b32 v9, v15                                  // temp store offset 1
v_cmp_lt_u32 s[46:47], v6, s[sgprSizesFree+0]      // coord0 < size0
v_cmp_lt_u32 s[48:49], v1, s[sgprSizesFree+1]      // coord1 < size1
s_and_b64 s[52:53], s[46:47], s[48:49]             // in0 && in1
s_mov_b64 exec, s[52:53]                           // sgprs -> exec
_v_add_co_u32 v14, vcc, v2, v8                     // addrVgpr = D + index*bytes (lo)
_v_addc_co_u32 v15, vcc, v3, v9, vcc               // addrVgpr = D + index*bytes (hi)
s_mov_b64 exec, -1                                 // full mask -1 -> exec
/* (d1,vc1,d0,vc0)=(3,0,2,0) */
s_mov_b32 s46, 256                                 // coordOffset0 d0=2 vc0=0
_v_add_co_u32 v6, vcc, v0, s46                     // coord0.2: coord0 += d0*sg0*VW + vc0
	;; [unrolled: 23-line block ×3, first 2 shown]
GLOBAL_OFFSET_C 34, 6, 1, sgprWorkGroup2, 8
v_mov_b32 v8, v34                                  // temp store offset 0
v_mov_b32 v9, v35                                  // temp store offset 1
v_cmp_lt_u32 s[46:47], v6, s[sgprSizesFree+0]      // coord0 < size0
v_cmp_lt_u32 s[48:49], v1, s[sgprSizesFree+1]      // coord1 < size1
s_and_b64 s[56:57], s[46:47], s[48:49]             // in0 && in1
s_mov_b64 exec, s[56:57]                           // sgprs -> exec
_v_add_co_u32 v34, vcc, v4, v8                     // addrVgpr = C + index*bytes (lo)
_v_addc_co_u32 v35, vcc, v5, v9, vcc               // addrVgpr = C + index*bytes (hi)
_global_load_b128 v[44:47], v[34:35], off, offset:0,  sc0 sc1 // load C for beta calc
GLOBAL_OFFSET_D 34, 6, 1, sgprWorkGroup2, 8
v_mov_b32 v8, v34                                  // temp store offset 0
v_mov_b32 v9, v35                                  // temp store offset 1
v_cmp_lt_u32 s[46:47], v6, s[sgprSizesFree+0]      // coord0 < size0
v_cmp_lt_u32 s[48:49], v1, s[sgprSizesFree+1]      // coord1 < size1
s_and_b64 s[56:57], s[46:47], s[48:49]             // in0 && in1
s_mov_b64 exec, s[56:57]                           // sgprs -> exec
_v_add_co_u32 v34, vcc, v2, v8                     // addrVgpr = D + index*bytes (lo)
_v_addc_co_u32 v35, vcc, v3, v9, vcc               // addrVgpr = D + index*bytes (hi)
s_mov_b64 exec, -1                                 // full mask -1 -> exec
s_sleep 5 // optimization: sync and wait
s_barrier
v_accvgpr_read_b32 v[vgprValuC+20], acc6 // copy acc to vreg[96]
v_accvgpr_read_b32 v[vgprValuC+21], acc7 // copy acc to vreg[97]
v_accvgpr_read_b32 v[vgprValuC+22], acc14 // copy acc to vreg[98]
v_accvgpr_read_b32 v[vgprValuC+23], acc15 // copy acc to vreg[99]
v_accvgpr_read_b32 v[vgprValuC+28], acc22 // copy acc to vreg[100]
v_accvgpr_read_b32 v[vgprValuC+29], acc23 // copy acc to vreg[101]
v_accvgpr_read_b32 v[vgprValuC+30], acc30 // copy acc to vreg[102]
v_accvgpr_read_b32 v[vgprValuC+31], acc31 // copy acc to vreg[103]
v_accvgpr_read_b32 v[vgprValuC+40], acc38 // copy acc to vreg[104]
v_accvgpr_read_b32 v[vgprValuC+41], acc39 // copy acc to vreg[105]
v_accvgpr_read_b32 v[vgprValuC+42], acc46 // copy acc to vreg[106]
v_accvgpr_read_b32 v[vgprValuC+43], acc47 // copy acc to vreg[107]
v_accvgpr_read_b32 v[vgprValuC+48], acc54 // copy acc to vreg[108]
v_accvgpr_read_b32 v[vgprValuC+49], acc55 // copy acc to vreg[109]
v_accvgpr_read_b32 v[vgprValuC+50], acc62 // copy acc to vreg[110]
v_accvgpr_read_b32 v[vgprValuC+51], acc63 // copy acc to vreg[111]
s_nop 1                                            // 2 wait states required before reading vgpr

/* rC *= alpha batchElements=[(3, 0, 0, 0), (3, 1, 0, 0), (3, 2, 0, 0), (3, 3, 0, 0)] */
v_mul_f64 v[vgprValuC+20:vgprValuC+20+1], s[sgprAlpha:sgprAlpha+1], v[vgprValuC+20:vgprValuC+20+1] // *= alpha
v_mul_f64 v[vgprValuC+22:vgprValuC+22+1], s[sgprAlpha:sgprAlpha+1], v[vgprValuC+22:vgprValuC+22+1] // *= alpha
v_mul_f64 v[vgprValuC+28:vgprValuC+28+1], s[sgprAlpha:sgprAlpha+1], v[vgprValuC+28:vgprValuC+28+1] // *= alpha
v_mul_f64 v[vgprValuC+30:vgprValuC+30+1], s[sgprAlpha:sgprAlpha+1], v[vgprValuC+30:vgprValuC+30+1] // *= alpha
v_mul_f64 v[vgprValuC+40:vgprValuC+40+1], s[sgprAlpha:sgprAlpha+1], v[vgprValuC+40:vgprValuC+40+1] // *= alpha
v_mul_f64 v[vgprValuC+42:vgprValuC+42+1], s[sgprAlpha:sgprAlpha+1], v[vgprValuC+42:vgprValuC+42+1] // *= alpha
v_mul_f64 v[vgprValuC+48:vgprValuC+48+1], s[sgprAlpha:sgprAlpha+1], v[vgprValuC+48:vgprValuC+48+1] // *= alpha
v_mul_f64 v[vgprValuC+50:vgprValuC+50+1], s[sgprAlpha:sgprAlpha+1], v[vgprValuC+50:vgprValuC+50+1] // *= alpha
s_waitcnt vmcnt(0)                                 // wait C

/* apply mask, calc new C and issue writes */
s_mov_b64 exec, s[50:51]                           // sgprs -> exec
v_fma_f64 v[vgprValuC+20:vgprValuC+20+1], v[16:17], s[sgprBeta:sgprBeta+1], v[vgprValuC+20:vgprValuC+20+1] // finalSum = sum*alpha + C*beta
v_fma_f64 v[vgprValuC+22:vgprValuC+22+1], v[18:19], s[sgprBeta:sgprBeta+1], v[vgprValuC+22:vgprValuC+22+1] // finalSum = sum*alpha + C*beta
_global_store_b128 v[12:13], v[20:23], off,  sc0 sc1 // store D
s_mov_b64 exec, s[52:53]                           // sgprs -> exec
v_fma_f64 v[vgprValuC+28:vgprValuC+28+1], v[24:25], s[sgprBeta:sgprBeta+1], v[vgprValuC+28:vgprValuC+28+1] // finalSum = sum*alpha + C*beta
v_fma_f64 v[vgprValuC+30:vgprValuC+30+1], v[26:27], s[sgprBeta:sgprBeta+1], v[vgprValuC+30:vgprValuC+30+1] // finalSum = sum*alpha + C*beta
_global_store_b128 v[14:15], v[28:31], off,  sc0 sc1 // store D
	;; [unrolled: 4-line block ×4, first 2 shown]
s_mov_b64 exec, -1                                 // full mask -> exec
s_nop 0                                            // 1 wait state required when next inst writes vgprs held by previous dwordx4 store inst
/* optSingleColVgpr=0 optSharedColVgpr=0 optSGPRUsage=None optSrdIncForRow=0 */
s_sleep 5 // optimization: sync and wait
s_barrier

/******************************************/
/* Global Write Alpha Beta Edge Batch #7 (d1,d0,vc1,vc0) = */
/*    (3,4,0,0:vw2); (3,5,0,0:vw2); (3,6,0,0:vw2); (3,7,0,0:vw2) */
/******************************************/

/* calc coords, apply mask, and issue loads (if necessary) */
/* (d1,vc1,d0,vc0)=(3,0,4,0) */
s_mov_b32 s46, 512                                 // coordOffset0 d0=4 vc0=0
_v_add_co_u32 v6, vcc, v0, s46                     // coord0.2: coord0 += d0*sg0*VW + vc0
GLOBAL_OFFSET_C 12, 6, 1, sgprWorkGroup2, 8
v_mov_b32 v8, v12                                  // temp store offset 0
v_mov_b32 v9, v13                                  // temp store offset 1
v_cmp_lt_u32 s[46:47], v6, s[sgprSizesFree+0]      // coord0 < size0
v_cmp_lt_u32 s[48:49], v1, s[sgprSizesFree+1]      // coord1 < size1
s_and_b64 s[50:51], s[46:47], s[48:49]             // in0 && in1
s_mov_b64 exec, s[50:51]                           // sgprs -> exec
_v_add_co_u32 v12, vcc, v4, v8                     // addrVgpr = C + index*bytes (lo)
_v_addc_co_u32 v13, vcc, v5, v9, vcc               // addrVgpr = C + index*bytes (hi)
_global_load_b128 v[16:19], v[12:13], off, offset:0,  sc0 sc1 // load C for beta calc
GLOBAL_OFFSET_D 12, 6, 1, sgprWorkGroup2, 8
v_mov_b32 v8, v12                                  // temp store offset 0
v_mov_b32 v9, v13                                  // temp store offset 1
v_cmp_lt_u32 s[46:47], v6, s[sgprSizesFree+0]      // coord0 < size0
v_cmp_lt_u32 s[48:49], v1, s[sgprSizesFree+1]      // coord1 < size1
s_and_b64 s[50:51], s[46:47], s[48:49]             // in0 && in1
s_mov_b64 exec, s[50:51]                           // sgprs -> exec
_v_add_co_u32 v12, vcc, v2, v8                     // addrVgpr = D + index*bytes (lo)
_v_addc_co_u32 v13, vcc, v3, v9, vcc               // addrVgpr = D + index*bytes (hi)
s_mov_b64 exec, -1                                 // full mask -1 -> exec
/* (d1,vc1,d0,vc0)=(3,0,5,0) */
s_mov_b32 s46, 640                                 // coordOffset0 d0=5 vc0=0
_v_add_co_u32 v6, vcc, v0, s46                     // coord0.2: coord0 += d0*sg0*VW + vc0
GLOBAL_OFFSET_C 14, 6, 1, sgprWorkGroup2, 8
v_mov_b32 v8, v14                                  // temp store offset 0
v_mov_b32 v9, v15                                  // temp store offset 1
v_cmp_lt_u32 s[46:47], v6, s[sgprSizesFree+0]      // coord0 < size0
v_cmp_lt_u32 s[48:49], v1, s[sgprSizesFree+1]      // coord1 < size1
s_and_b64 s[52:53], s[46:47], s[48:49]             // in0 && in1
s_mov_b64 exec, s[52:53]                           // sgprs -> exec
_v_add_co_u32 v14, vcc, v4, v8                     // addrVgpr = C + index*bytes (lo)
_v_addc_co_u32 v15, vcc, v5, v9, vcc               // addrVgpr = C + index*bytes (hi)
_global_load_b128 v[24:27], v[14:15], off, offset:0,  sc0 sc1 // load C for beta calc
GLOBAL_OFFSET_D 14, 6, 1, sgprWorkGroup2, 8
v_mov_b32 v8, v14                                  // temp store offset 0
v_mov_b32 v9, v15                                  // temp store offset 1
v_cmp_lt_u32 s[46:47], v6, s[sgprSizesFree+0]      // coord0 < size0
v_cmp_lt_u32 s[48:49], v1, s[sgprSizesFree+1]      // coord1 < size1
s_and_b64 s[52:53], s[46:47], s[48:49]             // in0 && in1
s_mov_b64 exec, s[52:53]                           // sgprs -> exec
_v_add_co_u32 v14, vcc, v2, v8                     // addrVgpr = D + index*bytes (lo)
_v_addc_co_u32 v15, vcc, v3, v9, vcc               // addrVgpr = D + index*bytes (hi)
s_mov_b64 exec, -1                                 // full mask -1 -> exec
/* (d1,vc1,d0,vc0)=(3,0,6,0) */
s_mov_b32 s46, 768                                 // coordOffset0 d0=6 vc0=0
_v_add_co_u32 v6, vcc, v0, s46                     // coord0.2: coord0 += d0*sg0*VW + vc0
GLOBAL_OFFSET_C 32, 6, 1, sgprWorkGroup2, 8
v_mov_b32 v8, v32                                  // temp store offset 0
v_mov_b32 v9, v33                                  // temp store offset 1
v_cmp_lt_u32 s[46:47], v6, s[sgprSizesFree+0]      // coord0 < size0
v_cmp_lt_u32 s[48:49], v1, s[sgprSizesFree+1]      // coord1 < size1
s_and_b64 s[54:55], s[46:47], s[48:49]             // in0 && in1
s_mov_b64 exec, s[54:55]                           // sgprs -> exec
_v_add_co_u32 v32, vcc, v4, v8                     // addrVgpr = C + index*bytes (lo)
_v_addc_co_u32 v33, vcc, v5, v9, vcc               // addrVgpr = C + index*bytes (hi)
_global_load_b128 v[36:39], v[32:33], off, offset:0,  sc0 sc1 // load C for beta calc
GLOBAL_OFFSET_D 32, 6, 1, sgprWorkGroup2, 8
v_mov_b32 v8, v32                                  // temp store offset 0
v_mov_b32 v9, v33                                  // temp store offset 1
v_cmp_lt_u32 s[46:47], v6, s[sgprSizesFree+0]      // coord0 < size0
v_cmp_lt_u32 s[48:49], v1, s[sgprSizesFree+1]      // coord1 < size1
s_and_b64 s[54:55], s[46:47], s[48:49]             // in0 && in1
s_mov_b64 exec, s[54:55]                           // sgprs -> exec
_v_add_co_u32 v32, vcc, v2, v8                     // addrVgpr = D + index*bytes (lo)
_v_addc_co_u32 v33, vcc, v3, v9, vcc               // addrVgpr = D + index*bytes (hi)
s_mov_b64 exec, -1                                 // full mask -1 -> exec
/* (d1,vc1,d0,vc0)=(3,0,7,0) */
s_mov_b32 s46, 896                                 // coordOffset0 d0=7 vc0=0
_v_add_co_u32 v6, vcc, v0, s46                     // coord0.2: coord0 += d0*sg0*VW + vc0
GLOBAL_OFFSET_C 34, 6, 1, sgprWorkGroup2, 8
v_mov_b32 v8, v34                                  // temp store offset 0
v_mov_b32 v9, v35                                  // temp store offset 1
v_cmp_lt_u32 s[46:47], v6, s[sgprSizesFree+0]      // coord0 < size0
v_cmp_lt_u32 s[48:49], v1, s[sgprSizesFree+1]      // coord1 < size1
s_and_b64 s[56:57], s[46:47], s[48:49]             // in0 && in1
s_mov_b64 exec, s[56:57]                           // sgprs -> exec
_v_add_co_u32 v34, vcc, v4, v8                     // addrVgpr = C + index*bytes (lo)
_v_addc_co_u32 v35, vcc, v5, v9, vcc               // addrVgpr = C + index*bytes (hi)
_global_load_b128 v[44:47], v[34:35], off, offset:0,  sc0 sc1 // load C for beta calc
GLOBAL_OFFSET_D 34, 6, 1, sgprWorkGroup2, 8
v_mov_b32 v8, v34                                  // temp store offset 0
v_mov_b32 v9, v35                                  // temp store offset 1
v_cmp_lt_u32 s[46:47], v6, s[sgprSizesFree+0]      // coord0 < size0
v_cmp_lt_u32 s[48:49], v1, s[sgprSizesFree+1]      // coord1 < size1
s_and_b64 s[56:57], s[46:47], s[48:49]             // in0 && in1
s_mov_b64 exec, s[56:57]                           // sgprs -> exec
_v_add_co_u32 v34, vcc, v2, v8                     // addrVgpr = D + index*bytes (lo)
_v_addc_co_u32 v35, vcc, v3, v9, vcc               // addrVgpr = D + index*bytes (hi)
s_mov_b64 exec, -1                                 // full mask -1 -> exec
s_sleep 5 // optimization: sync and wait
s_barrier
v_accvgpr_read_b32 v[vgprValuC+20], acc70 // copy acc to vreg[112]
v_accvgpr_read_b32 v[vgprValuC+21], acc71 // copy acc to vreg[113]
v_accvgpr_read_b32 v[vgprValuC+22], acc78 // copy acc to vreg[114]
v_accvgpr_read_b32 v[vgprValuC+23], acc79 // copy acc to vreg[115]
v_accvgpr_read_b32 v[vgprValuC+28], acc86 // copy acc to vreg[116]
v_accvgpr_read_b32 v[vgprValuC+29], acc87 // copy acc to vreg[117]
v_accvgpr_read_b32 v[vgprValuC+30], acc94 // copy acc to vreg[118]
v_accvgpr_read_b32 v[vgprValuC+31], acc95 // copy acc to vreg[119]
v_accvgpr_read_b32 v[vgprValuC+40], acc102 // copy acc to vreg[120]
v_accvgpr_read_b32 v[vgprValuC+41], acc103 // copy acc to vreg[121]
v_accvgpr_read_b32 v[vgprValuC+42], acc110 // copy acc to vreg[122]
v_accvgpr_read_b32 v[vgprValuC+43], acc111 // copy acc to vreg[123]
v_accvgpr_read_b32 v[vgprValuC+48], acc118 // copy acc to vreg[124]
v_accvgpr_read_b32 v[vgprValuC+49], acc119 // copy acc to vreg[125]
v_accvgpr_read_b32 v[vgprValuC+50], acc126 // copy acc to vreg[126]
v_accvgpr_read_b32 v[vgprValuC+51], acc127 // copy acc to vreg[127]
s_nop 1                                            // 2 wait states required before reading vgpr

/* rC *= alpha batchElements=[(3, 4, 0, 0), (3, 5, 0, 0), (3, 6, 0, 0), (3, 7, 0, 0)] */
v_mul_f64 v[vgprValuC+20:vgprValuC+20+1], s[sgprAlpha:sgprAlpha+1], v[vgprValuC+20:vgprValuC+20+1] // *= alpha
v_mul_f64 v[vgprValuC+22:vgprValuC+22+1], s[sgprAlpha:sgprAlpha+1], v[vgprValuC+22:vgprValuC+22+1] // *= alpha
	;; [unrolled: 1-line block ×8, first 2 shown]
s_waitcnt vmcnt(0)                                 // wait C

/* apply mask, calc new C and issue writes */
s_mov_b64 exec, s[50:51]                           // sgprs -> exec
v_fma_f64 v[vgprValuC+20:vgprValuC+20+1], v[16:17], s[sgprBeta:sgprBeta+1], v[vgprValuC+20:vgprValuC+20+1] // finalSum = sum*alpha + C*beta
v_fma_f64 v[vgprValuC+22:vgprValuC+22+1], v[18:19], s[sgprBeta:sgprBeta+1], v[vgprValuC+22:vgprValuC+22+1] // finalSum = sum*alpha + C*beta
_global_store_b128 v[12:13], v[20:23], off,  sc0 sc1 // store D
s_mov_b64 exec, s[52:53]                           // sgprs -> exec
v_fma_f64 v[vgprValuC+28:vgprValuC+28+1], v[24:25], s[sgprBeta:sgprBeta+1], v[vgprValuC+28:vgprValuC+28+1] // finalSum = sum*alpha + C*beta
v_fma_f64 v[vgprValuC+30:vgprValuC+30+1], v[26:27], s[sgprBeta:sgprBeta+1], v[vgprValuC+30:vgprValuC+30+1] // finalSum = sum*alpha + C*beta
_global_store_b128 v[14:15], v[28:31], off,  sc0 sc1 // store D
	;; [unrolled: 4-line block ×4, first 2 shown]
s_mov_b64 exec, -1                                 // full mask -> exec
s_nop 0                                            // 1 wait state required when next inst writes vgprs held by previous dwordx4 store inst
s_branch label_GW_End_37                           // jump to end
label_GW_End_37:

label_0042:  /// KernelEnd
s_endpgm                                           // Kernel End

